;; amdgpu-corpus repo=ROCm/rocFFT kind=compiled arch=gfx1030 opt=O3
	.text
	.amdgcn_target "amdgcn-amd-amdhsa--gfx1030"
	.amdhsa_code_object_version 6
	.protected	bluestein_single_back_len1274_dim1_dp_op_CI_CI ; -- Begin function bluestein_single_back_len1274_dim1_dp_op_CI_CI
	.globl	bluestein_single_back_len1274_dim1_dp_op_CI_CI
	.p2align	8
	.type	bluestein_single_back_len1274_dim1_dp_op_CI_CI,@function
bluestein_single_back_len1274_dim1_dp_op_CI_CI: ; @bluestein_single_back_len1274_dim1_dp_op_CI_CI
; %bb.0:
	s_load_dwordx4 s[8:11], s[4:5], 0x28
	v_mul_u32_u24_e32 v1, 0x169, v0
	s_mov_b64 s[46:47], s[2:3]
	s_mov_b64 s[44:45], s[0:1]
	v_mov_b32_e32 v9, 0
	s_add_u32 s44, s44, s7
	v_lshrrev_b32_e32 v1, 16, v1
	s_addc_u32 s45, s45, 0
	s_mov_b32 s0, exec_lo
	v_add_nc_u32_e32 v8, s6, v1
	s_waitcnt lgkmcnt(0)
	v_cmpx_gt_u64_e64 s[8:9], v[8:9]
	s_cbranch_execz .LBB0_23
; %bb.1:
	s_clause 0x1
	s_load_dwordx4 s[0:3], s[4:5], 0x18
	s_load_dwordx2 s[6:7], s[4:5], 0x0
	v_mul_lo_u16 v1, 0xb6, v1
	v_mov_b32_e32 v9, v8
	v_sub_nc_u16 v11, v0, v1
	v_and_b32_e32 v100, 0xffff, v11
	v_lshlrev_b32_e32 v10, 4, v100
	s_waitcnt lgkmcnt(0)
	s_load_dwordx4 s[12:15], s[0:1], 0x0
	v_add_co_u32 v255, s0, s6, v10
	v_add_co_ci_u32_e64 v178, null, s7, 0, s0
	global_load_dwordx4 v[64:67], v10, s[6:7]
	v_add_co_u32 v12, vcc_lo, 0x2000, v255
	v_add_co_ci_u32_e32 v13, vcc_lo, 0, v178, vcc_lo
	buffer_store_dword v9, off, s[44:47], 0 offset:8 ; 4-byte Folded Spill
	buffer_store_dword v10, off, s[44:47], 0 offset:12 ; 4-byte Folded Spill
	v_add_co_u32 v2, vcc_lo, 0x800, v255
	buffer_store_dword v12, off, s[44:47], 0 ; 4-byte Folded Spill
	buffer_store_dword v13, off, s[44:47], 0 offset:4 ; 4-byte Folded Spill
	v_add_co_ci_u32_e32 v3, vcc_lo, 0, v178, vcc_lo
	v_add_co_u32 v6, vcc_lo, 0x3000, v255
	v_add_co_ci_u32_e32 v7, vcc_lo, 0, v178, vcc_lo
	s_waitcnt lgkmcnt(0)
	v_mad_u64_u32 v[0:1], null, s14, v8, 0
	v_mad_u64_u32 v[4:5], null, s12, v100, 0
	v_add_co_u32 v16, vcc_lo, 0x1000, v255
	v_add_co_ci_u32_e32 v17, vcc_lo, 0, v178, vcc_lo
	v_mad_u64_u32 v[8:9], null, s15, v8, v[1:2]
	v_add_co_u32 v20, vcc_lo, 0x3800, v255
	v_add_co_ci_u32_e32 v21, vcc_lo, 0, v178, vcc_lo
	global_load_dwordx4 v[72:75], v[2:3], off offset:864
	s_mul_i32 s1, s13, 0x27d
	v_mov_b32_e32 v1, v8
	s_mul_hi_u32 s7, s12, 0x27d
	s_mul_i32 s0, s12, 0x27d
	s_mul_hi_u32 s9, s12, 0xfffffe39
	s_add_i32 s1, s7, s1
	v_lshlrev_b64 v[0:1], 4, v[0:1]
	s_mul_i32 s8, s13, 0xfffffe39
	s_mul_i32 s6, s12, 0xfffffe39
	s_sub_i32 s7, s9, s12
	s_add_i32 s7, s7, s8
	v_add_co_u32 v0, vcc_lo, s10, v0
	v_add_co_ci_u32_e32 v1, vcc_lo, s11, v1, vcc_lo
	global_load_dwordx4 v[68:71], v[12:13], off offset:2000
	v_mad_u64_u32 v[12:13], null, s13, v100, v[5:6]
	s_lshl_b64 s[12:13], s[0:1], 4
	s_lshl_b64 s[0:1], s[6:7], 4
	v_mov_b32_e32 v5, v12
	global_load_dwordx4 v[12:15], v[6:7], off offset:816
	v_lshlrev_b64 v[2:3], 4, v[4:5]
	v_add_co_u32 v0, vcc_lo, v0, v2
	v_add_co_ci_u32_e32 v1, vcc_lo, v1, v3, vcc_lo
	v_add_co_u32 v8, vcc_lo, v0, s12
	v_add_co_ci_u32_e32 v9, vcc_lo, s13, v1, vcc_lo
	;; [unrolled: 2-line block ×3, first 2 shown]
	s_clause 0x1
	global_load_dwordx4 v[2:5], v[0:1], off
	global_load_dwordx4 v[6:9], v[8:9], off
	v_add_co_u32 v22, vcc_lo, v18, s12
	v_add_co_ci_u32_e32 v23, vcc_lo, s13, v19, vcc_lo
	global_load_dwordx4 v[24:27], v[18:19], off
	v_add_co_u32 v32, vcc_lo, v22, s0
	v_add_co_ci_u32_e32 v33, vcc_lo, s1, v23, vcc_lo
	v_add_co_u32 v0, vcc_lo, v32, s12
	v_add_co_ci_u32_e32 v1, vcc_lo, s13, v33, vcc_lo
	s_clause 0x1
	global_load_dwordx4 v[28:31], v[22:23], off
	global_load_dwordx4 v[32:35], v[32:33], off
	s_clause 0x1
	global_load_dwordx4 v[16:19], v[16:17], off offset:1728
	global_load_dwordx4 v[20:23], v[20:21], off offset:1680
	global_load_dwordx4 v[36:39], v[0:1], off
	v_cmp_gt_u16_e32 vcc_lo, 0x5b, v11
	s_waitcnt vmcnt(7)
	v_mul_f64 v[40:41], v[4:5], v[66:67]
	s_waitcnt vmcnt(6)
	v_mul_f64 v[44:45], v[8:9], v[70:71]
	v_mul_f64 v[42:43], v[2:3], v[66:67]
	;; [unrolled: 1-line block ×3, first 2 shown]
	s_waitcnt vmcnt(5)
	v_mul_f64 v[48:49], v[26:27], v[74:75]
	v_mul_f64 v[50:51], v[24:25], v[74:75]
	s_waitcnt vmcnt(4)
	v_mul_f64 v[52:53], v[30:31], v[14:15]
	v_mul_f64 v[54:55], v[28:29], v[14:15]
	;; [unrolled: 3-line block ×4, first 2 shown]
	v_fma_f64 v[2:3], v[2:3], v[64:65], v[40:41]
	buffer_store_dword v64, off, s[44:47], 0 offset:20 ; 4-byte Folded Spill
	buffer_store_dword v65, off, s[44:47], 0 offset:24 ; 4-byte Folded Spill
	buffer_store_dword v66, off, s[44:47], 0 offset:28 ; 4-byte Folded Spill
	buffer_store_dword v67, off, s[44:47], 0 offset:32 ; 4-byte Folded Spill
	v_fma_f64 v[6:7], v[6:7], v[68:69], v[44:45]
	buffer_store_dword v68, off, s[44:47], 0 offset:36 ; 4-byte Folded Spill
	buffer_store_dword v69, off, s[44:47], 0 offset:40 ; 4-byte Folded Spill
	buffer_store_dword v70, off, s[44:47], 0 offset:44 ; 4-byte Folded Spill
	buffer_store_dword v71, off, s[44:47], 0 offset:48 ; 4-byte Folded Spill
	;; [unrolled: 5-line block ×5, first 2 shown]
	s_load_dwordx2 s[6:7], s[4:5], 0x38
	s_load_dwordx4 s[8:11], s[2:3], 0x0
	v_fma_f64 v[36:37], v[36:37], v[20:21], v[60:61]
	v_fma_f64 v[38:39], v[38:39], v[20:21], -v[62:63]
	v_fma_f64 v[4:5], v[4:5], v[64:65], -v[42:43]
	;; [unrolled: 1-line block ×3, first 2 shown]
	ds_write_b128 v10, v[2:5]
	ds_write_b128 v10, v[6:9] offset:10192
	v_fma_f64 v[26:27], v[26:27], v[72:73], -v[50:51]
	v_fma_f64 v[30:31], v[30:31], v[12:13], -v[54:55]
	;; [unrolled: 1-line block ×3, first 2 shown]
	ds_write_b128 v10, v[24:27] offset:2912
	ds_write_b128 v10, v[28:31] offset:13104
	;; [unrolled: 1-line block ×4, first 2 shown]
	s_and_saveexec_b32 s2, vcc_lo
	s_cbranch_execz .LBB0_3
; %bb.2:
	v_add_co_u32 v0, s0, v0, s0
	v_add_co_ci_u32_e64 v1, s0, s1, v1, s0
	v_add_co_u32 v8, s0, 0x4800, v255
	v_add_co_ci_u32_e64 v9, s0, 0, v178, s0
	;; [unrolled: 2-line block ×3, first 2 shown]
	global_load_dwordx4 v[0:3], v[0:1], off
	s_clause 0x1
	buffer_load_dword v4, off, s[44:47], 0
	buffer_load_dword v5, off, s[44:47], 0 offset:4
	s_waitcnt vmcnt(0)
	s_clause 0x1
	global_load_dwordx4 v[4:7], v[4:5], off offset:544
	global_load_dwordx4 v[24:27], v[8:9], off offset:496
	global_load_dwordx4 v[28:31], v[28:29], off
	s_waitcnt vmcnt(2)
	v_mul_f64 v[8:9], v[2:3], v[6:7]
	v_mul_f64 v[6:7], v[0:1], v[6:7]
	s_waitcnt vmcnt(0)
	v_mul_f64 v[32:33], v[30:31], v[26:27]
	v_mul_f64 v[26:27], v[28:29], v[26:27]
	v_fma_f64 v[0:1], v[0:1], v[4:5], v[8:9]
	v_fma_f64 v[2:3], v[2:3], v[4:5], -v[6:7]
	v_fma_f64 v[4:5], v[28:29], v[24:25], v[32:33]
	v_fma_f64 v[6:7], v[30:31], v[24:25], -v[26:27]
	ds_write_b128 v10, v[0:3] offset:8736
	ds_write_b128 v10, v[4:7] offset:18928
.LBB0_3:
	s_or_b32 exec_lo, exec_lo, s2
	s_waitcnt lgkmcnt(0)
	s_waitcnt_vscnt null, 0x0
	s_barrier
	buffer_gl0_inv
	ds_read_b128 v[32:35], v10
	ds_read_b128 v[40:43], v10 offset:2912
	ds_read_b128 v[24:27], v10 offset:10192
	;; [unrolled: 1-line block ×5, first 2 shown]
                                        ; implicit-def: $vgpr48_vgpr49
                                        ; implicit-def: $vgpr52_vgpr53
	s_and_saveexec_b32 s0, vcc_lo
	s_cbranch_execz .LBB0_5
; %bb.4:
	ds_read_b128 v[48:51], v10 offset:8736
	ds_read_b128 v[52:55], v10 offset:18928
.LBB0_5:
	s_or_b32 exec_lo, exec_lo, s0
	s_waitcnt lgkmcnt(3)
	v_add_f64 v[24:25], v[32:33], -v[24:25]
	v_add_f64 v[26:27], v[34:35], -v[26:27]
	s_waitcnt lgkmcnt(1)
	v_add_f64 v[28:29], v[40:41], -v[28:29]
	v_add_f64 v[30:31], v[42:43], -v[30:31]
	;; [unrolled: 3-line block ×3, first 2 shown]
	v_add_f64 v[52:53], v[48:49], -v[52:53]
	v_add_f64 v[54:55], v[50:51], -v[54:55]
	s_load_dwordx2 s[2:3], s[4:5], 0x8
	v_lshlrev_b16 v0, 1, v100
	v_mov_b32_e32 v1, 4
	v_add_co_u32 v2, null, 0x222, v100
	v_lshlrev_b32_e32 v3, 5, v100
	s_waitcnt lgkmcnt(0)
	v_lshlrev_b32_sdwa v1, v1, v0 dst_sel:DWORD dst_unused:UNUSED_PAD src0_sel:DWORD src1_sel:WORD_0
	v_lshlrev_b32_e32 v0, 5, v2
	s_barrier
	buffer_gl0_inv
	buffer_store_dword v0, off, s[44:47], 0 offset:108 ; 4-byte Folded Spill
	v_fma_f64 v[64:65], v[32:33], 2.0, -v[24:25]
	v_fma_f64 v[66:67], v[34:35], 2.0, -v[26:27]
	;; [unrolled: 1-line block ×8, first 2 shown]
	ds_write_b128 v1, v[24:27] offset:16
	ds_write_b128 v3, v[28:31] offset:5840
	buffer_store_dword v1, off, s[44:47], 0 offset:112 ; 4-byte Folded Spill
	ds_write_b128 v1, v[64:67]
	ds_write_b128 v3, v[32:35] offset:5824
	ds_write_b128 v3, v[60:63] offset:11648
	buffer_store_dword v3, off, s[44:47], 0 offset:116 ; 4-byte Folded Spill
	ds_write_b128 v3, v[36:39] offset:11664
	s_and_saveexec_b32 s0, vcc_lo
	s_cbranch_execz .LBB0_7
; %bb.6:
	buffer_load_dword v0, off, s[44:47], 0 offset:108 ; 4-byte Folded Reload
	s_waitcnt vmcnt(0)
	ds_write_b128 v0, v[68:71]
	ds_write_b128 v0, v[52:55] offset:16
.LBB0_7:
	s_or_b32 exec_lo, exec_lo, s0
	v_cmp_gt_u16_e64 s0, 0x62, v100
	s_waitcnt lgkmcnt(0)
	s_waitcnt_vscnt null, 0x0
	s_barrier
	buffer_gl0_inv
                                        ; implicit-def: $vgpr84_vgpr85
                                        ; implicit-def: $vgpr80_vgpr81
                                        ; implicit-def: $vgpr76_vgpr77
                                        ; implicit-def: $vgpr72_vgpr73
                                        ; implicit-def: $vgpr96_vgpr97
	s_and_saveexec_b32 s1, s0
	s_cbranch_execz .LBB0_9
; %bb.8:
	ds_read_b128 v[64:67], v10
	ds_read_b128 v[24:27], v10 offset:1568
	ds_read_b128 v[32:35], v10 offset:3136
	;; [unrolled: 1-line block ×12, first 2 shown]
.LBB0_9:
	s_or_b32 exec_lo, exec_lo, s1
	v_and_b32_e32 v0, 1, v100
	s_mov_b32 s24, 0x42a4c3d2
	s_mov_b32 s25, 0xbfea55e2
	;; [unrolled: 1-line block ×4, first 2 shown]
	buffer_store_dword v0, off, s[44:47], 0 offset:100 ; 4-byte Folded Spill
	v_mul_u32_u24_e32 v0, 12, v0
	s_mov_b32 s12, 0xe00740e9
	s_mov_b32 s13, 0x3fec55a7
	;; [unrolled: 1-line block ×4, first 2 shown]
	v_lshlrev_b32_e32 v4, 4, v0
	s_mov_b32 s28, 0x66966769
	s_mov_b32 s29, 0xbfefc445
	;; [unrolled: 1-line block ×3, first 2 shown]
	s_clause 0x3
	global_load_dwordx4 v[44:47], v4, s[2:3]
	global_load_dwordx4 v[56:59], v4, s[2:3] offset:16
	global_load_dwordx4 v[48:51], v4, s[2:3] offset:32
	global_load_dwordx4 v[40:43], v4, s[2:3] offset:48
	s_mov_b32 s15, 0x3fbedb7d
	s_mov_b32 s26, 0x2ef20147
	;; [unrolled: 1-line block ×19, first 2 shown]
	v_mov_b32_e32 v19, v100
	s_waitcnt vmcnt(3) lgkmcnt(11)
	v_mul_f64 v[0:1], v[26:27], v[46:47]
	v_mul_f64 v[2:3], v[24:25], v[46:47]
	v_fma_f64 v[156:157], v[24:25], v[44:45], -v[0:1]
	v_fma_f64 v[158:159], v[26:27], v[44:45], v[2:3]
	s_waitcnt vmcnt(2) lgkmcnt(10)
	v_mul_f64 v[0:1], v[34:35], v[58:59]
	v_mul_f64 v[2:3], v[32:33], v[58:59]
	v_fma_f64 v[6:7], v[32:33], v[56:57], -v[0:1]
	v_fma_f64 v[105:106], v[34:35], v[56:57], v[2:3]
	s_clause 0x1
	global_load_dwordx4 v[32:35], v4, s[2:3] offset:64
	global_load_dwordx4 v[24:27], v4, s[2:3] offset:80
	s_waitcnt vmcnt(3) lgkmcnt(9)
	v_mul_f64 v[0:1], v[30:31], v[50:51]
	v_mul_f64 v[2:3], v[28:29], v[50:51]
	v_fma_f64 v[15:16], v[28:29], v[48:49], -v[0:1]
	s_waitcnt vmcnt(2) lgkmcnt(8)
	v_mul_f64 v[0:1], v[62:63], v[42:43]
	v_fma_f64 v[101:102], v[30:31], v[48:49], v[2:3]
	v_mul_f64 v[2:3], v[60:61], v[42:43]
	v_fma_f64 v[11:12], v[60:61], v[40:41], -v[0:1]
	v_fma_f64 v[13:14], v[62:63], v[40:41], v[2:3]
	s_waitcnt vmcnt(1) lgkmcnt(7)
	v_mul_f64 v[0:1], v[38:39], v[34:35]
	v_fma_f64 v[103:104], v[36:37], v[32:33], -v[0:1]
	v_mul_f64 v[0:1], v[36:37], v[34:35]
	v_fma_f64 v[107:108], v[38:39], v[32:33], v[0:1]
	s_clause 0x1
	global_load_dwordx4 v[28:31], v4, s[2:3] offset:96
	global_load_dwordx4 v[36:39], v4, s[2:3] offset:112
	s_waitcnt vmcnt(2) lgkmcnt(6)
	v_mul_f64 v[0:1], v[70:71], v[26:27]
	v_fma_f64 v[17:18], v[68:69], v[24:25], -v[0:1]
	v_mul_f64 v[0:1], v[68:69], v[26:27]
	v_fma_f64 v[68:69], v[70:71], v[24:25], v[0:1]
	s_waitcnt vmcnt(1) lgkmcnt(5)
	v_mul_f64 v[0:1], v[54:55], v[30:31]
	v_fma_f64 v[70:71], v[52:53], v[28:29], -v[0:1]
	v_mul_f64 v[0:1], v[52:53], v[30:31]
	v_add_f64 v[168:169], v[17:18], v[70:71]
	v_fma_f64 v[114:115], v[54:55], v[28:29], v[0:1]
	s_clause 0x3
	global_load_dwordx4 v[52:55], v4, s[2:3] offset:128
	global_load_dwordx4 v[60:63], v4, s[2:3] offset:144
	;; [unrolled: 1-line block ×4, first 2 shown]
	s_waitcnt vmcnt(4) lgkmcnt(4)
	v_mul_f64 v[0:1], v[86:87], v[38:39]
	v_fma_f64 v[116:117], v[84:85], v[36:37], -v[0:1]
	v_mul_f64 v[0:1], v[84:85], v[38:39]
	v_add_f64 v[160:161], v[103:104], v[116:117]
	v_fma_f64 v[120:121], v[86:87], v[36:37], v[0:1]
	v_add_f64 v[142:143], v[107:108], -v[120:121]
	v_mul_f64 v[187:188], v[142:143], s[30:31]
	v_mul_f64 v[233:234], v[142:143], s[36:37]
	;; [unrolled: 1-line block ×3, first 2 shown]
	s_waitcnt vmcnt(3) lgkmcnt(3)
	v_mul_f64 v[0:1], v[82:83], v[54:55]
	v_fma_f64 v[118:119], v[80:81], v[52:53], -v[0:1]
	v_mul_f64 v[0:1], v[80:81], v[54:55]
	v_add_f64 v[152:153], v[11:12], v[118:119]
	v_fma_f64 v[122:123], v[82:83], v[52:53], v[0:1]
	s_waitcnt vmcnt(2) lgkmcnt(2)
	v_mul_f64 v[0:1], v[78:79], v[62:63]
	v_fma_f64 v[82:83], v[76:77], v[60:61], -v[0:1]
	v_mul_f64 v[0:1], v[76:77], v[62:63]
	v_add_f64 v[148:149], v[15:16], v[82:83]
	v_fma_f64 v[124:125], v[78:79], v[60:61], v[0:1]
	s_waitcnt vmcnt(1) lgkmcnt(0)
	v_mul_f64 v[0:1], v[96:97], v[94:95]
	v_add_f64 v[84:85], v[101:102], -v[124:125]
	v_fma_f64 v[76:77], v[98:99], v[92:93], v[0:1]
	v_mul_f64 v[0:1], v[98:99], v[94:95]
	v_mul_f64 v[217:218], v[84:85], s[34:35]
	v_add_f64 v[2:3], v[158:159], -v[76:77]
	v_fma_f64 v[78:79], v[96:97], v[92:93], -v[0:1]
	s_waitcnt vmcnt(0)
	v_mul_f64 v[0:1], v[74:75], v[90:91]
	v_add_f64 v[96:97], v[13:14], -v[122:123]
	v_mul_f64 v[249:250], v[84:85], s[40:41]
	v_mul_f64 v[144:145], v[84:85], s[30:31]
	;; [unrolled: 1-line block ×3, first 2 shown]
	v_add_f64 v[185:186], v[156:157], v[78:79]
	v_fma_f64 v[80:81], v[72:73], v[88:89], -v[0:1]
	v_mul_f64 v[0:1], v[72:73], v[90:91]
	v_mul_f64 v[179:180], v[96:97], s[26:27]
	;; [unrolled: 1-line block ×4, first 2 shown]
	v_fma_f64 v[72:73], v[74:75], v[88:89], v[0:1]
	v_add_f64 v[74:75], v[6:7], v[80:81]
	v_fma_f64 v[0:1], v[185:186], s[12:13], v[183:184]
	v_add_f64 v[8:9], v[105:106], -v[72:73]
	v_add_f64 v[0:1], v[64:65], v[0:1]
	v_mul_f64 v[4:5], v[8:9], s[24:25]
	v_mul_f64 v[213:214], v[8:9], s[26:27]
	v_mul_f64 v[235:236], v[8:9], s[34:35]
	v_mul_f64 v[203:204], v[8:9], s[38:39]
	buffer_store_dword v4, off, s[44:47], 0 offset:296 ; 4-byte Folded Spill
	buffer_store_dword v5, off, s[44:47], 0 offset:300 ; 4-byte Folded Spill
	;; [unrolled: 1-line block ×14, first 2 shown]
	v_fma_f64 v[4:5], v[74:75], s[4:5], v[4:5]
	v_add_f64 v[78:79], v[156:157], -v[78:79]
	v_add_f64 v[112:113], v[158:159], v[76:77]
	v_add_f64 v[80:81], v[6:7], -v[80:81]
	v_add_f64 v[98:99], v[105:106], v[72:73]
	v_mul_f64 v[72:73], v[2:3], s[30:31]
	v_add_f64 v[0:1], v[4:5], v[0:1]
	v_mul_f64 v[110:111], v[78:79], s[22:23]
	s_mov_b32 s23, 0x3fddbe06
	v_mul_f64 v[6:7], v[80:81], s[24:25]
	v_mul_f64 v[221:222], v[80:81], s[26:27]
	;; [unrolled: 1-line block ×3, first 2 shown]
	buffer_store_dword v6, off, s[44:47], 0 offset:304 ; 4-byte Folded Spill
	buffer_store_dword v7, off, s[44:47], 0 offset:308 ; 4-byte Folded Spill
	v_fma_f64 v[4:5], v[112:113], s[12:13], -v[110:111]
	v_mul_f64 v[251:252], v[80:81], s[34:35]
	v_mul_f64 v[253:254], v[96:97], s[22:23]
	;; [unrolled: 1-line block ×7, first 2 shown]
	v_add_f64 v[4:5], v[66:67], v[4:5]
	v_fma_f64 v[6:7], v[98:99], s[4:5], -v[6:7]
	v_add_f64 v[4:5], v[6:7], v[4:5]
	v_mul_f64 v[6:7], v[84:85], s[28:29]
	buffer_store_dword v6, off, s[44:47], 0 offset:312 ; 4-byte Folded Spill
	buffer_store_dword v7, off, s[44:47], 0 offset:316 ; 4-byte Folded Spill
	;; [unrolled: 1-line block ×10, first 2 shown]
	v_fma_f64 v[6:7], v[148:149], s[14:15], v[6:7]
	v_add_f64 v[86:87], v[15:16], -v[82:83]
	v_add_f64 v[150:151], v[101:102], v[124:125]
	v_add_f64 v[0:1], v[6:7], v[0:1]
	v_mul_f64 v[6:7], v[86:87], s[28:29]
	buffer_store_dword v6, off, s[44:47], 0 offset:320 ; 4-byte Folded Spill
	buffer_store_dword v7, off, s[44:47], 0 offset:324 ; 4-byte Folded Spill
	;; [unrolled: 1-line block ×22, first 2 shown]
	v_mul_f64 v[227:228], v[86:87], s[34:35]
	v_mul_f64 v[162:163], v[86:87], s[40:41]
	;; [unrolled: 1-line block ×4, first 2 shown]
	v_fma_f64 v[6:7], v[150:151], s[14:15], -v[6:7]
	v_add_f64 v[140:141], v[11:12], -v[118:119]
	v_add_f64 v[154:155], v[13:14], v[122:123]
	v_add_f64 v[13:14], v[68:69], -v[114:115]
	buffer_store_dword v68, off, s[44:47], 0 offset:160 ; 4-byte Folded Spill
	buffer_store_dword v69, off, s[44:47], 0 offset:164 ; 4-byte Folded Spill
	;; [unrolled: 1-line block ×4, first 2 shown]
	v_add_f64 v[11:12], v[103:104], -v[116:117]
	v_add_f64 v[164:165], v[107:108], v[120:121]
	v_add_f64 v[15:16], v[17:18], -v[70:71]
	v_mul_f64 v[70:71], v[2:3], s[24:25]
	v_mul_f64 v[116:117], v[78:79], s[24:25]
	;; [unrolled: 1-line block ×3, first 2 shown]
	v_fma_f64 v[17:18], v[98:99], s[18:19], -v[209:210]
	v_mul_f64 v[106:107], v[8:9], s[36:37]
	v_mul_f64 v[108:109], v[80:81], s[36:37]
	s_waitcnt_vscnt null, 0x0
	s_barrier
	buffer_gl0_inv
	buffer_store_dword v19, off, s[44:47], 0 offset:16 ; 4-byte Folded Spill
	v_add_f64 v[4:5], v[6:7], v[4:5]
	v_fma_f64 v[6:7], v[152:153], s[16:17], v[179:180]
	v_mul_f64 v[181:182], v[140:141], s[26:27]
	v_mul_f64 v[215:216], v[13:14], s[34:35]
	;; [unrolled: 1-line block ×13, first 2 shown]
	s_mov_b32 s29, 0x3fcea1e5
	s_mov_b32 s28, s34
	;; [unrolled: 1-line block ×3, first 2 shown]
	v_mul_f64 v[193:194], v[142:143], s[28:29]
	v_mul_f64 v[199:200], v[11:12], s[28:29]
	s_mov_b32 s38, s24
	v_mul_f64 v[166:167], v[96:97], s[28:29]
	v_mul_f64 v[189:190], v[13:14], s[38:39]
	v_add_f64 v[0:1], v[6:7], v[0:1]
	v_fma_f64 v[6:7], v[154:155], s[16:17], -v[181:182]
	v_mul_f64 v[195:196], v[15:16], s[38:39]
	v_mul_f64 v[104:105], v[140:141], s[28:29]
	;; [unrolled: 1-line block ×7, first 2 shown]
	v_add_f64 v[4:5], v[6:7], v[4:5]
	v_fma_f64 v[6:7], v[160:161], s[18:19], v[187:188]
	v_add_f64 v[0:1], v[6:7], v[0:1]
	v_fma_f64 v[6:7], v[164:165], s[18:19], -v[191:192]
	v_add_f64 v[4:5], v[6:7], v[4:5]
	v_fma_f64 v[6:7], v[168:169], s[20:21], v[215:216]
	v_add_f64 v[132:133], v[6:7], v[0:1]
	v_fma_f64 v[6:7], v[98:99], s[16:17], -v[221:222]
	v_add_f64 v[170:171], v[68:69], v[114:115]
	v_fma_f64 v[68:69], v[98:99], s[14:15], -v[108:109]
	v_mul_f64 v[114:115], v[86:87], s[24:25]
	v_fma_f64 v[0:1], v[170:171], s[20:21], -v[229:230]
	v_add_f64 v[134:135], v[0:1], v[4:5]
	v_fma_f64 v[0:1], v[185:186], s[4:5], v[70:71]
	v_fma_f64 v[4:5], v[74:75], s[16:17], v[213:214]
	v_add_f64 v[0:1], v[64:65], v[0:1]
	v_add_f64 v[0:1], v[4:5], v[0:1]
	v_fma_f64 v[4:5], v[112:113], s[4:5], -v[116:117]
	v_add_f64 v[4:5], v[66:67], v[4:5]
	v_add_f64 v[4:5], v[6:7], v[4:5]
	v_fma_f64 v[6:7], v[148:149], s[20:21], v[217:218]
	v_add_f64 v[0:1], v[6:7], v[0:1]
	v_fma_f64 v[6:7], v[150:151], s[20:21], -v[227:228]
	v_add_f64 v[4:5], v[6:7], v[4:5]
	v_fma_f64 v[6:7], v[152:153], s[18:19], v[225:226]
	v_add_f64 v[0:1], v[6:7], v[0:1]
	v_fma_f64 v[6:7], v[154:155], s[18:19], -v[237:238]
	;; [unrolled: 4-line block ×4, first 2 shown]
	v_fma_f64 v[6:7], v[98:99], s[20:21], -v[251:252]
	v_add_f64 v[138:139], v[0:1], v[4:5]
	v_fma_f64 v[0:1], v[185:186], s[14:15], v[118:119]
	v_fma_f64 v[4:5], v[74:75], s[20:21], v[235:236]
	v_add_f64 v[0:1], v[64:65], v[0:1]
	v_add_f64 v[0:1], v[4:5], v[0:1]
	v_fma_f64 v[4:5], v[112:113], s[14:15], -v[76:77]
	v_add_f64 v[4:5], v[66:67], v[4:5]
	v_add_f64 v[4:5], v[6:7], v[4:5]
	v_fma_f64 v[6:7], v[148:149], s[16:17], v[249:250]
	v_add_f64 v[0:1], v[6:7], v[0:1]
	v_fma_f64 v[6:7], v[150:151], s[16:17], -v[162:163]
	v_add_f64 v[4:5], v[6:7], v[4:5]
	v_fma_f64 v[6:7], v[152:153], s[12:13], v[253:254]
	v_add_f64 v[0:1], v[6:7], v[0:1]
	v_fma_f64 v[6:7], v[154:155], s[12:13], -v[100:101]
	;; [unrolled: 4-line block ×4, first 2 shown]
	v_fma_f64 v[6:7], v[74:75], s[18:19], v[203:204]
	v_add_f64 v[130:131], v[0:1], v[4:5]
	v_mul_f64 v[0:1], v[2:3], s[26:27]
	v_fma_f64 v[4:5], v[185:186], s[16:17], v[0:1]
	v_add_f64 v[4:5], v[64:65], v[4:5]
	v_add_f64 v[4:5], v[6:7], v[4:5]
	v_fma_f64 v[6:7], v[112:113], s[16:17], -v[172:173]
	v_add_f64 v[6:7], v[66:67], v[6:7]
	v_add_f64 v[6:7], v[17:18], v[6:7]
	v_fma_f64 v[17:18], v[148:149], s[12:13], v[205:206]
	v_add_f64 v[4:5], v[17:18], v[4:5]
	v_fma_f64 v[17:18], v[150:151], s[12:13], -v[207:208]
	v_add_f64 v[6:7], v[17:18], v[6:7]
	v_fma_f64 v[17:18], v[152:153], s[14:15], v[197:198]
	v_add_f64 v[4:5], v[17:18], v[4:5]
	v_fma_f64 v[17:18], v[154:155], s[14:15], -v[201:202]
	;; [unrolled: 4-line block ×4, first 2 shown]
	v_add_f64 v[126:127], v[4:5], v[6:7]
	v_fma_f64 v[4:5], v[185:186], s[18:19], v[72:73]
	v_fma_f64 v[6:7], v[74:75], s[14:15], v[106:107]
	v_add_f64 v[4:5], v[64:65], v[4:5]
	v_add_f64 v[6:7], v[6:7], v[4:5]
	v_mul_f64 v[4:5], v[78:79], s[30:31]
	v_fma_f64 v[17:18], v[112:113], s[18:19], -v[4:5]
	v_add_f64 v[17:18], v[66:67], v[17:18]
	v_add_f64 v[17:18], v[68:69], v[17:18]
	v_mul_f64 v[68:69], v[84:85], s[24:25]
	v_mul_f64 v[84:85], v[140:141], s[38:39]
	v_fma_f64 v[82:83], v[148:149], s[4:5], v[68:69]
	v_add_f64 v[6:7], v[82:83], v[6:7]
	v_fma_f64 v[82:83], v[150:151], s[4:5], -v[114:115]
	v_add_f64 v[17:18], v[82:83], v[17:18]
	v_fma_f64 v[82:83], v[152:153], s[20:21], v[166:167]
	v_add_f64 v[6:7], v[82:83], v[6:7]
	v_fma_f64 v[82:83], v[154:155], s[20:21], -v[104:105]
	v_add_f64 v[17:18], v[82:83], v[17:18]
	v_fma_f64 v[82:83], v[160:161], s[12:13], v[241:242]
	v_add_f64 v[6:7], v[82:83], v[6:7]
	v_fma_f64 v[82:83], v[164:165], s[12:13], -v[176:177]
	v_add_f64 v[17:18], v[82:83], v[17:18]
	v_fma_f64 v[82:83], v[168:169], s[16:17], v[223:224]
	v_add_f64 v[120:121], v[82:83], v[6:7]
	v_fma_f64 v[6:7], v[170:171], s[16:17], -v[239:240]
	v_mul_f64 v[82:83], v[8:9], s[22:23]
	v_add_f64 v[122:123], v[6:7], v[17:18]
	v_mul_f64 v[6:7], v[2:3], s[34:35]
	v_fma_f64 v[8:9], v[74:75], s[12:13], v[82:83]
	v_fma_f64 v[2:3], v[185:186], s[20:21], v[6:7]
	v_add_f64 v[2:3], v[64:65], v[2:3]
	v_add_f64 v[2:3], v[8:9], v[2:3]
	v_mul_f64 v[8:9], v[78:79], s[34:35]
	v_fma_f64 v[78:79], v[98:99], s[12:13], -v[174:175]
	v_fma_f64 v[17:18], v[112:113], s[20:21], -v[8:9]
	v_add_f64 v[17:18], v[66:67], v[17:18]
	v_add_f64 v[17:18], v[78:79], v[17:18]
	v_fma_f64 v[78:79], v[148:149], s[18:19], v[144:145]
	v_add_f64 v[2:3], v[78:79], v[2:3]
	v_fma_f64 v[78:79], v[150:151], s[18:19], -v[146:147]
	v_add_f64 v[17:18], v[78:79], v[17:18]
	v_fma_f64 v[78:79], v[152:153], s[4:5], v[80:81]
	v_add_f64 v[78:79], v[78:79], v[2:3]
	v_fma_f64 v[2:3], v[154:155], s[4:5], -v[84:85]
	v_add_f64 v[17:18], v[2:3], v[17:18]
	v_mul_f64 v[2:3], v[142:143], s[26:27]
	v_fma_f64 v[86:87], v[160:161], s[16:17], v[2:3]
	v_add_f64 v[140:141], v[86:87], v[78:79]
	v_mul_f64 v[86:87], v[11:12], s[26:27]
	v_mul_f64 v[78:79], v[13:14], s[36:37]
	v_fma_f64 v[11:12], v[164:165], s[16:17], -v[86:87]
	v_fma_f64 v[13:14], v[168:169], s[14:15], v[78:79]
	v_add_f64 v[11:12], v[11:12], v[17:18]
	v_add_f64 v[140:141], v[13:14], v[140:141]
	v_fma_f64 v[13:14], v[170:171], s[14:15], -v[96:97]
	v_add_f64 v[142:143], v[13:14], v[11:12]
	v_lshrrev_b32_e32 v11, 1, v19
	buffer_store_dword v11, off, s[44:47], 0 offset:104 ; 4-byte Folded Spill
	s_and_saveexec_b32 s1, s0
	s_cbranch_execz .LBB0_11
; %bb.10:
	v_mul_f64 v[11:12], v[112:113], s[20:21]
	v_mul_f64 v[15:16], v[185:186], s[16:17]
	;; [unrolled: 1-line block ×4, first 2 shown]
	v_add_f64 v[8:9], v[8:9], v[11:12]
	v_mul_f64 v[11:12], v[185:186], s[20:21]
	v_add_f64 v[0:1], v[15:16], -v[0:1]
	v_mul_f64 v[15:16], v[112:113], s[14:15]
	v_add_f64 v[13:14], v[172:173], v[13:14]
	v_add_f64 v[17:18], v[17:18], -v[118:119]
	v_add_f64 v[8:9], v[66:67], v[8:9]
	v_add_f64 v[6:7], v[11:12], -v[6:7]
	v_mul_f64 v[11:12], v[112:113], s[18:19]
	v_add_f64 v[15:16], v[76:77], v[15:16]
	v_mul_f64 v[76:77], v[185:186], s[4:5]
	v_add_f64 v[13:14], v[66:67], v[13:14]
	v_add_f64 v[17:18], v[64:65], v[17:18]
	;; [unrolled: 1-line block ×4, first 2 shown]
	v_mul_f64 v[11:12], v[185:186], s[18:19]
	v_add_f64 v[70:71], v[76:77], -v[70:71]
	v_mul_f64 v[76:77], v[112:113], s[12:13]
	v_add_f64 v[15:16], v[66:67], v[15:16]
	v_add_f64 v[118:119], v[66:67], v[4:5]
	v_add_f64 v[11:12], v[11:12], -v[72:73]
	v_mul_f64 v[72:73], v[112:113], s[4:5]
	v_add_f64 v[76:77], v[110:111], v[76:77]
	v_mul_f64 v[110:111], v[185:186], s[12:13]
	v_add_f64 v[112:113], v[66:67], v[158:159]
	v_add_f64 v[70:71], v[64:65], v[70:71]
	v_mul_f64 v[158:159], v[148:149], s[16:17]
	v_add_f64 v[11:12], v[64:65], v[11:12]
	v_add_f64 v[72:73], v[116:117], v[72:73]
	;; [unrolled: 1-line block ×3, first 2 shown]
	v_add_f64 v[110:111], v[110:111], -v[183:184]
	v_add_f64 v[156:157], v[64:65], v[0:1]
	v_add_f64 v[4:5], v[66:67], v[76:77]
	v_mul_f64 v[0:1], v[98:99], s[12:13]
	v_mul_f64 v[76:77], v[170:171], s[14:15]
	v_add_f64 v[158:159], v[158:159], -v[249:250]
	v_add_f64 v[72:73], v[66:67], v[72:73]
	v_mul_f64 v[66:67], v[74:75], s[12:13]
	v_add_f64 v[64:65], v[64:65], v[110:111]
	v_mul_f64 v[110:111], v[164:165], s[16:17]
	v_add_f64 v[0:1], v[174:175], v[0:1]
	v_add_f64 v[76:77], v[96:97], v[76:77]
	v_mul_f64 v[96:97], v[148:149], s[18:19]
	v_add_f64 v[66:67], v[66:67], -v[82:83]
	v_mul_f64 v[82:83], v[150:151], s[18:19]
	v_add_f64 v[86:87], v[86:87], v[110:111]
	v_mul_f64 v[110:111], v[154:155], s[4:5]
	v_add_f64 v[0:1], v[0:1], v[8:9]
	v_mul_f64 v[8:9], v[152:153], s[4:5]
	v_add_f64 v[96:97], v[96:97], -v[144:145]
	v_mul_f64 v[144:145], v[74:75], s[20:21]
	v_add_f64 v[6:7], v[66:67], v[6:7]
	v_add_f64 v[82:83], v[146:147], v[82:83]
	v_mul_f64 v[66:67], v[160:161], s[16:17]
	v_add_f64 v[84:85], v[84:85], v[110:111]
	v_mul_f64 v[110:111], v[98:99], s[20:21]
	v_add_f64 v[8:9], v[8:9], -v[80:81]
	v_mul_f64 v[80:81], v[152:153], s[16:17]
	v_mul_f64 v[146:147], v[150:151], s[16:17]
	v_add_f64 v[144:145], v[144:145], -v[235:236]
	v_add_f64 v[6:7], v[96:97], v[6:7]
	v_add_f64 v[0:1], v[82:83], v[0:1]
	v_add_f64 v[2:3], v[66:67], -v[2:3]
	v_mul_f64 v[82:83], v[164:165], s[18:19]
	v_add_f64 v[110:111], v[251:252], v[110:111]
	v_mul_f64 v[96:97], v[168:169], s[12:13]
	v_add_f64 v[80:81], v[80:81], -v[179:180]
	v_add_f64 v[146:147], v[162:163], v[146:147]
	v_mul_f64 v[162:163], v[154:155], s[12:13]
	v_add_f64 v[17:18], v[144:145], v[17:18]
	v_add_f64 v[6:7], v[8:9], v[6:7]
	;; [unrolled: 1-line block ×3, first 2 shown]
	v_mul_f64 v[8:9], v[168:169], s[14:15]
	v_add_f64 v[82:83], v[191:192], v[82:83]
	v_add_f64 v[15:16], v[110:111], v[15:16]
	v_mul_f64 v[84:85], v[160:161], s[14:15]
	v_add_f64 v[96:97], v[96:97], -v[231:232]
	v_add_f64 v[100:101], v[100:101], v[162:163]
	v_mul_f64 v[162:163], v[152:153], s[12:13]
	v_add_f64 v[17:18], v[158:159], v[17:18]
	v_add_f64 v[6:7], v[2:3], v[6:7]
	;; [unrolled: 1-line block ×3, first 2 shown]
	v_add_f64 v[8:9], v[8:9], -v[78:79]
	v_mul_f64 v[86:87], v[170:171], s[12:13]
	v_add_f64 v[15:16], v[146:147], v[15:16]
	v_add_f64 v[84:85], v[84:85], -v[233:234]
	v_add_f64 v[162:163], v[162:163], -v[253:254]
	v_add_f64 v[2:3], v[76:77], v[0:1]
	v_add_f64 v[0:1], v[8:9], v[6:7]
	s_clause 0x7
	buffer_load_dword v8, off, s[44:47], 0 offset:304
	buffer_load_dword v9, off, s[44:47], 0 offset:308
	;; [unrolled: 1-line block ×8, first 2 shown]
	v_mul_f64 v[6:7], v[98:99], s[4:5]
	v_add_f64 v[15:16], v[100:101], v[15:16]
	v_add_f64 v[17:18], v[162:163], v[17:18]
	v_mul_f64 v[100:101], v[154:155], s[14:15]
	v_add_f64 v[86:87], v[247:248], v[86:87]
	v_add_f64 v[100:101], v[201:202], v[100:101]
	s_waitcnt vmcnt(6)
	v_add_f64 v[6:7], v[8:9], v[6:7]
	v_mul_f64 v[8:9], v[74:75], s[4:5]
	v_add_f64 v[4:5], v[6:7], v[4:5]
	s_waitcnt vmcnt(4)
	v_add_f64 v[8:9], v[8:9], -v[66:67]
	v_mul_f64 v[66:67], v[150:151], s[14:15]
	v_add_f64 v[6:7], v[8:9], v[64:65]
	s_waitcnt vmcnt(2)
	v_add_f64 v[66:67], v[76:77], v[66:67]
	v_mul_f64 v[76:77], v[148:149], s[14:15]
	v_mul_f64 v[8:9], v[160:161], s[18:19]
	;; [unrolled: 1-line block ×3, first 2 shown]
	v_add_f64 v[4:5], v[66:67], v[4:5]
	s_waitcnt vmcnt(0)
	v_add_f64 v[76:77], v[76:77], -v[78:79]
	v_mul_f64 v[78:79], v[154:155], s[16:17]
	v_add_f64 v[8:9], v[8:9], -v[187:188]
	v_add_f64 v[64:65], v[229:230], v[64:65]
	v_mul_f64 v[66:67], v[168:169], s[20:21]
	v_add_f64 v[6:7], v[76:77], v[6:7]
	v_add_f64 v[78:79], v[181:182], v[78:79]
	v_mul_f64 v[76:77], v[148:149], s[20:21]
	v_add_f64 v[66:67], v[66:67], -v[215:216]
	v_add_f64 v[6:7], v[80:81], v[6:7]
	v_add_f64 v[4:5], v[78:79], v[4:5]
	v_add_f64 v[76:77], v[76:77], -v[217:218]
	v_mul_f64 v[80:81], v[152:153], s[18:19]
	v_mul_f64 v[78:79], v[154:155], s[18:19]
	v_add_f64 v[8:9], v[8:9], v[6:7]
	v_add_f64 v[4:5], v[82:83], v[4:5]
	v_mul_f64 v[82:83], v[164:165], s[14:15]
	v_add_f64 v[80:81], v[80:81], -v[225:226]
	v_add_f64 v[78:79], v[237:238], v[78:79]
	v_add_f64 v[6:7], v[64:65], v[4:5]
	v_mul_f64 v[64:65], v[74:75], s[16:17]
	v_add_f64 v[4:5], v[66:67], v[8:9]
	v_mul_f64 v[8:9], v[98:99], s[16:17]
	v_mul_f64 v[66:67], v[150:151], s[20:21]
	v_add_f64 v[82:83], v[245:246], v[82:83]
	v_add_f64 v[64:65], v[64:65], -v[213:214]
	v_add_f64 v[8:9], v[221:222], v[8:9]
	v_add_f64 v[66:67], v[227:228], v[66:67]
	v_add_f64 v[64:65], v[64:65], v[70:71]
	v_mul_f64 v[70:71], v[164:165], s[4:5]
	v_add_f64 v[8:9], v[8:9], v[72:73]
	s_clause 0x1
	buffer_load_dword v72, off, s[44:47], 0 offset:184
	buffer_load_dword v73, off, s[44:47], 0 offset:188
	v_add_f64 v[64:65], v[76:77], v[64:65]
	s_clause 0x1
	buffer_load_dword v76, off, s[44:47], 0 offset:168
	buffer_load_dword v77, off, s[44:47], 0 offset:172
	v_add_f64 v[8:9], v[66:67], v[8:9]
	v_mul_f64 v[66:67], v[160:161], s[4:5]
	v_add_f64 v[70:71], v[102:103], v[70:71]
	v_add_f64 v[64:65], v[80:81], v[64:65]
	s_clause 0x1
	buffer_load_dword v80, off, s[44:47], 0 offset:152
	buffer_load_dword v81, off, s[44:47], 0 offset:156
	v_add_f64 v[8:9], v[78:79], v[8:9]
	v_add_f64 v[66:67], v[66:67], -v[243:244]
	v_add_f64 v[15:16], v[70:71], v[15:16]
	v_mul_f64 v[78:79], v[170:171], s[18:19]
	v_add_f64 v[64:65], v[84:85], v[64:65]
	v_mul_f64 v[84:85], v[98:99], s[18:19]
	v_add_f64 v[8:9], v[82:83], v[8:9]
	v_add_f64 v[17:18], v[66:67], v[17:18]
	v_mul_f64 v[82:83], v[148:149], s[4:5]
	v_add_f64 v[78:79], v[219:220], v[78:79]
	v_add_f64 v[64:65], v[96:97], v[64:65]
	;; [unrolled: 1-line block ×3, first 2 shown]
	v_add_f64 v[68:69], v[82:83], -v[68:69]
	v_mul_f64 v[82:83], v[74:75], s[14:15]
	v_mul_f64 v[74:75], v[74:75], s[18:19]
	v_add_f64 v[13:14], v[84:85], v[13:14]
	v_mul_f64 v[84:85], v[148:149], s[12:13]
	v_add_f64 v[82:83], v[82:83], -v[106:107]
	v_add_f64 v[74:75], v[74:75], -v[203:204]
	;; [unrolled: 1-line block ×3, first 2 shown]
	v_add_f64 v[11:12], v[82:83], v[11:12]
	v_add_f64 v[74:75], v[74:75], v[156:157]
	;; [unrolled: 1-line block ×4, first 2 shown]
	v_mul_f64 v[84:85], v[164:165], s[20:21]
	v_add_f64 v[84:85], v[199:200], v[84:85]
	s_waitcnt vmcnt(4)
	v_add_f64 v[72:73], v[112:113], v[72:73]
	s_waitcnt vmcnt(2)
	;; [unrolled: 2-line block ×3, first 2 shown]
	v_add_f64 v[72:73], v[72:73], v[80:81]
	s_clause 0x5
	buffer_load_dword v80, off, s[44:47], 0 offset:136
	buffer_load_dword v81, off, s[44:47], 0 offset:140
	;; [unrolled: 1-line block ×6, first 2 shown]
	s_waitcnt vmcnt(4)
	v_add_f64 v[76:77], v[76:77], v[80:81]
	s_waitcnt vmcnt(2)
	v_add_f64 v[66:67], v[72:73], v[66:67]
	v_mul_f64 v[72:73], v[150:151], s[4:5]
	v_mul_f64 v[80:81], v[168:169], s[18:19]
	s_waitcnt vmcnt(0)
	v_add_f64 v[70:71], v[76:77], v[70:71]
	s_clause 0x1
	buffer_load_dword v76, off, s[44:47], 0 offset:192
	buffer_load_dword v77, off, s[44:47], 0 offset:196
	v_add_f64 v[72:73], v[114:115], v[72:73]
	v_add_f64 v[80:81], v[80:81], -v[211:212]
	s_waitcnt vmcnt(0)
	v_add_f64 v[66:67], v[66:67], v[76:77]
	s_clause 0x1
	buffer_load_dword v76, off, s[44:47], 0 offset:176
	buffer_load_dword v77, off, s[44:47], 0 offset:180
	s_waitcnt vmcnt(0)
	v_add_f64 v[70:71], v[70:71], v[76:77]
	v_mul_f64 v[76:77], v[98:99], s[14:15]
	s_clause 0x1
	buffer_load_dword v98, off, s[44:47], 0 offset:160
	buffer_load_dword v99, off, s[44:47], 0 offset:164
	v_add_f64 v[76:77], v[108:109], v[76:77]
	v_add_f64 v[76:77], v[76:77], v[118:119]
	;; [unrolled: 1-line block ×3, first 2 shown]
	v_mul_f64 v[76:77], v[152:153], s[20:21]
	v_add_f64 v[76:77], v[76:77], -v[166:167]
	v_add_f64 v[11:12], v[76:77], v[11:12]
	s_waitcnt vmcnt(0)
	v_add_f64 v[66:67], v[66:67], v[98:99]
	s_clause 0x1
	buffer_load_dword v98, off, s[44:47], 0 offset:144
	buffer_load_dword v99, off, s[44:47], 0 offset:148
	s_waitcnt vmcnt(0)
	v_add_f64 v[70:71], v[70:71], v[98:99]
	s_clause 0x1
	buffer_load_dword v98, off, s[44:47], 0 offset:208
	buffer_load_dword v99, off, s[44:47], 0 offset:212
	;; [unrolled: 5-line block ×3, first 2 shown]
	buffer_load_dword v82, off, s[44:47], 0 offset:256
	buffer_load_dword v83, off, s[44:47], 0 offset:260
	s_waitcnt vmcnt(2)
	v_add_f64 v[70:71], v[70:71], v[98:99]
	s_waitcnt vmcnt(0)
	v_add_f64 v[66:67], v[66:67], v[82:83]
	s_clause 0x3
	buffer_load_dword v82, off, s[44:47], 0 offset:232
	buffer_load_dword v83, off, s[44:47], 0 offset:236
	;; [unrolled: 1-line block ×4, first 2 shown]
	v_mul_f64 v[98:99], v[150:151], s[12:13]
	v_add_f64 v[98:99], v[207:208], v[98:99]
	v_add_f64 v[13:14], v[98:99], v[13:14]
	v_mul_f64 v[98:99], v[152:153], s[14:15]
	v_add_f64 v[13:14], v[100:101], v[13:14]
	v_add_f64 v[98:99], v[98:99], -v[197:198]
	v_mul_f64 v[100:101], v[160:161], s[20:21]
	v_add_f64 v[13:14], v[84:85], v[13:14]
	v_add_f64 v[74:75], v[98:99], v[74:75]
	v_add_f64 v[100:101], v[100:101], -v[193:194]
	v_add_f64 v[100:101], v[100:101], v[74:75]
	s_waitcnt vmcnt(2)
	v_add_f64 v[70:71], v[70:71], v[82:83]
	s_waitcnt vmcnt(0)
	v_add_f64 v[66:67], v[66:67], v[68:69]
	s_clause 0x3
	buffer_load_dword v68, off, s[44:47], 0 offset:240
	buffer_load_dword v69, off, s[44:47], 0 offset:244
	;; [unrolled: 1-line block ×4, first 2 shown]
	v_mul_f64 v[82:83], v[154:155], s[20:21]
	v_add_f64 v[82:83], v[104:105], v[82:83]
	v_add_f64 v[72:73], v[82:83], v[72:73]
	v_mul_f64 v[82:83], v[160:161], s[12:13]
	v_add_f64 v[82:83], v[82:83], -v[241:242]
	v_add_f64 v[11:12], v[82:83], v[11:12]
	s_waitcnt vmcnt(2)
	v_add_f64 v[68:69], v[70:71], v[68:69]
	v_mul_f64 v[70:71], v[164:165], s[12:13]
	s_waitcnt vmcnt(0)
	v_add_f64 v[66:67], v[66:67], v[76:77]
	s_clause 0x1
	buffer_load_dword v76, off, s[44:47], 0 offset:248
	buffer_load_dword v77, off, s[44:47], 0 offset:252
	v_add_f64 v[70:71], v[176:177], v[70:71]
	v_add_f64 v[72:73], v[70:71], v[72:73]
	v_mul_f64 v[70:71], v[168:169], s[16:17]
	v_add_f64 v[98:99], v[70:71], -v[223:224]
	v_mul_f64 v[70:71], v[170:171], s[4:5]
	v_add_f64 v[102:103], v[195:196], v[70:71]
	v_mul_f64 v[70:71], v[168:169], s[4:5]
	v_add_f64 v[84:85], v[70:71], -v[189:190]
	s_clause 0x1
	buffer_load_dword v70, off, s[44:47], 0 offset:288
	buffer_load_dword v71, off, s[44:47], 0 offset:292
	s_waitcnt vmcnt(2)
	v_add_f64 v[68:69], v[68:69], v[76:77]
	v_mul_f64 v[76:77], v[170:171], s[16:17]
	v_add_f64 v[76:77], v[239:240], v[76:77]
	v_add_f64 v[74:75], v[76:77], v[72:73]
	;; [unrolled: 1-line block ×4, first 2 shown]
	s_waitcnt vmcnt(0)
	v_add_f64 v[82:83], v[66:67], v[70:71]
	s_clause 0x2
	buffer_load_dword v66, off, s[44:47], 0 offset:280
	buffer_load_dword v67, off, s[44:47], 0 offset:284
	;; [unrolled: 1-line block ×3, first 2 shown]
	v_add_f64 v[70:71], v[78:79], v[15:16]
	v_add_f64 v[78:79], v[102:103], v[13:14]
	s_waitcnt vmcnt(1)
	v_add_f64 v[104:105], v[68:69], v[66:67]
	v_add_f64 v[66:67], v[86:87], v[8:9]
	s_clause 0x1
	buffer_load_dword v8, off, s[44:47], 0 offset:216
	buffer_load_dword v9, off, s[44:47], 0 offset:220
	v_add_f64 v[68:69], v[80:81], v[17:18]
	s_waitcnt vmcnt(2)
	v_mul_u32_u24_e32 v19, 26, v19
	s_waitcnt vmcnt(0)
	v_add_f64 v[82:83], v[82:83], v[8:9]
	s_clause 0x1
	buffer_load_dword v8, off, s[44:47], 0 offset:224
	buffer_load_dword v9, off, s[44:47], 0 offset:228
	s_waitcnt vmcnt(0)
	v_add_f64 v[80:81], v[104:105], v[8:9]
	buffer_load_dword v8, off, s[44:47], 0 offset:100 ; 4-byte Folded Reload
	s_waitcnt vmcnt(0)
	v_or_b32_e32 v8, v19, v8
	v_lshlrev_b32_e32 v8, 4, v8
	ds_write_b128 v8, v[140:143] offset:224
	ds_write_b128 v8, v[120:123] offset:256
	;; [unrolled: 1-line block ×11, first 2 shown]
	ds_write_b128 v8, v[80:83]
	ds_write_b128 v8, v[132:135] offset:384
.LBB0_11:
	s_or_b32 exec_lo, exec_lo, s1
	buffer_load_dword v233, off, s[44:47], 0 offset:16 ; 4-byte Folded Reload
	s_waitcnt vmcnt(0) lgkmcnt(0)
	s_waitcnt_vscnt null, 0x0
	s_barrier
	buffer_gl0_inv
	s_mov_b32 s12, 0x37e14327
	s_mov_b32 s18, 0xe976ee23
	;; [unrolled: 1-line block ×20, first 2 shown]
	v_and_b32_e32 v0, 0xff, v233
	v_mul_lo_u16 v0, 0x4f, v0
	v_lshrrev_b16 v19, 11, v0
	v_mul_lo_u16 v0, v19, 26
	v_sub_nc_u16 v0, v233, v0
	v_and_b32_e32 v154, 0xff, v0
	v_mad_u64_u32 v[0:1], null, 0x60, v154, s[2:3]
	s_clause 0x5
	global_load_dwordx4 v[68:71], v[0:1], off offset:384
	global_load_dwordx4 v[64:67], v[0:1], off offset:400
	;; [unrolled: 1-line block ×6, first 2 shown]
	ds_read_b128 v[0:3], v10 offset:2912
	ds_read_b128 v[4:7], v10 offset:5824
	;; [unrolled: 1-line block ×6, first 2 shown]
	s_waitcnt vmcnt(5) lgkmcnt(5)
	v_mul_f64 v[8:9], v[2:3], v[70:71]
	v_mul_f64 v[11:12], v[0:1], v[70:71]
	s_waitcnt vmcnt(4) lgkmcnt(4)
	v_mul_f64 v[13:14], v[6:7], v[66:67]
	v_mul_f64 v[15:16], v[4:5], v[66:67]
	;; [unrolled: 3-line block ×6, first 2 shown]
	v_fma_f64 v[0:1], v[0:1], v[68:69], -v[8:9]
	v_fma_f64 v[2:3], v[2:3], v[68:69], v[11:12]
	v_fma_f64 v[4:5], v[4:5], v[64:65], -v[13:14]
	v_fma_f64 v[6:7], v[6:7], v[64:65], v[15:16]
	v_fma_f64 v[8:9], v[96:97], v[72:73], -v[17:18]
	v_fma_f64 v[11:12], v[98:99], v[72:73], v[112:113]
	v_fma_f64 v[13:14], v[100:101], v[84:85], -v[114:115]
	v_fma_f64 v[15:16], v[102:103], v[84:85], v[116:117]
	v_fma_f64 v[17:18], v[104:105], v[80:81], -v[118:119]
	v_fma_f64 v[96:97], v[106:107], v[80:81], v[144:145]
	v_fma_f64 v[98:99], v[108:109], v[76:77], -v[146:147]
	v_fma_f64 v[100:101], v[110:111], v[76:77], v[148:149]
	v_add_f64 v[102:103], v[0:1], v[8:9]
	v_add_f64 v[104:105], v[2:3], v[11:12]
	;; [unrolled: 1-line block ×4, first 2 shown]
	v_add_f64 v[4:5], v[4:5], -v[13:14]
	v_add_f64 v[6:7], v[6:7], -v[15:16]
	v_add_f64 v[13:14], v[17:18], v[98:99]
	v_add_f64 v[15:16], v[96:97], v[100:101]
	v_add_f64 v[17:18], v[98:99], -v[17:18]
	v_add_f64 v[96:97], v[100:101], -v[96:97]
	;; [unrolled: 1-line block ×4, first 2 shown]
	ds_read_b128 v[0:3], v10
	s_waitcnt lgkmcnt(0)
	s_barrier
	buffer_gl0_inv
	v_add_f64 v[98:99], v[106:107], v[102:103]
	v_add_f64 v[100:101], v[108:109], v[104:105]
	v_add_f64 v[110:111], v[102:103], -v[13:14]
	v_add_f64 v[112:113], v[104:105], -v[15:16]
	v_add_f64 v[114:115], v[17:18], -v[4:5]
	v_add_f64 v[116:117], v[96:97], -v[6:7]
	v_add_f64 v[118:119], v[4:5], -v[8:9]
	v_add_f64 v[144:145], v[6:7], -v[11:12]
	v_add_f64 v[146:147], v[17:18], v[4:5]
	v_add_f64 v[148:149], v[96:97], v[6:7]
	v_add_f64 v[17:18], v[8:9], -v[17:18]
	v_add_f64 v[96:97], v[11:12], -v[96:97]
	v_add_f64 v[98:99], v[13:14], v[98:99]
	v_add_f64 v[100:101], v[15:16], v[100:101]
	v_add_f64 v[13:14], v[13:14], -v[106:107]
	v_add_f64 v[15:16], v[15:16], -v[108:109]
	v_mul_f64 v[110:111], v[110:111], s[12:13]
	v_mul_f64 v[112:113], v[112:113], s[12:13]
	;; [unrolled: 1-line block ×6, first 2 shown]
	v_add_f64 v[8:9], v[146:147], v[8:9]
	v_add_f64 v[11:12], v[148:149], v[11:12]
	v_mad_u64_u32 v[146:147], null, 0x60, v233, s[2:3]
	v_mov_b32_e32 v148, 0xb6
	v_add_f64 v[4:5], v[0:1], v[98:99]
	v_add_f64 v[6:7], v[2:3], v[100:101]
	v_add_f64 v[0:1], v[106:107], -v[102:103]
	v_add_f64 v[2:3], v[108:109], -v[104:105]
	v_mul_f64 v[102:103], v[13:14], s[4:5]
	v_mul_f64 v[104:105], v[15:16], s[4:5]
	v_fma_f64 v[13:14], v[13:14], s[4:5], v[110:111]
	v_fma_f64 v[15:16], v[15:16], s[4:5], v[112:113]
	;; [unrolled: 1-line block ×4, first 2 shown]
	v_fma_f64 v[114:115], v[118:119], s[14:15], -v[114:115]
	v_fma_f64 v[116:117], v[144:145], s[14:15], -v[116:117]
	v_fma_f64 v[17:18], v[17:18], s[26:27], -v[150:151]
	v_fma_f64 v[96:97], v[96:97], s[26:27], -v[152:153]
	v_fma_f64 v[98:99], v[98:99], s[16:17], v[4:5]
	v_fma_f64 v[100:101], v[100:101], s[16:17], v[6:7]
	v_fma_f64 v[110:111], v[0:1], s[22:23], -v[110:111]
	v_fma_f64 v[112:113], v[2:3], s[22:23], -v[112:113]
	;; [unrolled: 1-line block ×4, first 2 shown]
	v_fma_f64 v[118:119], v[8:9], s[28:29], v[106:107]
	v_fma_f64 v[144:145], v[11:12], s[28:29], v[108:109]
	;; [unrolled: 1-line block ×6, first 2 shown]
	v_add_f64 v[13:14], v[13:14], v[98:99]
	v_add_f64 v[15:16], v[15:16], v[100:101]
	;; [unrolled: 1-line block ×7, first 2 shown]
	v_add_f64 v[98:99], v[15:16], -v[118:119]
	v_add_f64 v[100:101], v[11:12], v[17:18]
	v_add_f64 v[102:103], v[116:117], -v[8:9]
	v_add_f64 v[104:105], v[0:1], -v[108:109]
	v_add_f64 v[106:107], v[114:115], v[2:3]
	v_add_f64 v[108:109], v[108:109], v[0:1]
	v_add_f64 v[110:111], v[2:3], -v[114:115]
	v_add_f64 v[112:113], v[17:18], -v[11:12]
	v_add_f64 v[114:115], v[8:9], v[116:117]
	v_add_f64 v[116:117], v[13:14], -v[144:145]
	v_add_f64 v[118:119], v[118:119], v[15:16]
	v_add_co_u32 v1, s1, 0xb40, v146
	v_mul_u32_u24_sdwa v0, v19, v148 dst_sel:DWORD dst_unused:UNUSED_PAD src0_sel:WORD_0 src1_sel:DWORD
	v_add_co_ci_u32_e64 v2, s1, 0, v147, s1
	v_add_co_u32 v8, s1, 0x800, v146
	v_add_co_ci_u32_e64 v9, s1, 0, v147, s1
	v_add_lshl_u32 v0, v0, v154, 4
	v_add_co_u32 v11, s1, 0xb80, v146
	v_add_co_ci_u32_e64 v12, s1, 0, v147, s1
	ds_write_b128 v0, v[4:7]
	ds_write_b128 v0, v[96:99] offset:416
	ds_write_b128 v0, v[100:103] offset:832
	;; [unrolled: 1-line block ×6, first 2 shown]
	s_waitcnt lgkmcnt(0)
	s_barrier
	buffer_gl0_inv
	s_clause 0x5
	global_load_dwordx4 v[100:103], v[8:9], off offset:832
	global_load_dwordx4 v[96:99], v[1:2], off offset:16
	;; [unrolled: 1-line block ×6, first 2 shown]
	ds_read_b128 v[1:4], v10 offset:2912
	ds_read_b128 v[5:8], v10 offset:5824
	;; [unrolled: 1-line block ×6, first 2 shown]
	v_add_co_u32 v179, s1, 0x4800, v255
	v_add_co_ci_u32_e64 v180, s1, 0, v178, s1
	s_waitcnt vmcnt(5) lgkmcnt(5)
	v_mul_f64 v[11:12], v[3:4], v[102:103]
	v_mul_f64 v[13:14], v[1:2], v[102:103]
	s_waitcnt vmcnt(4) lgkmcnt(4)
	v_mul_f64 v[15:16], v[7:8], v[98:99]
	v_mul_f64 v[17:18], v[5:6], v[98:99]
	;; [unrolled: 3-line block ×6, first 2 shown]
	v_fma_f64 v[1:2], v[1:2], v[100:101], -v[11:12]
	v_fma_f64 v[3:4], v[3:4], v[100:101], v[13:14]
	v_fma_f64 v[5:6], v[5:6], v[96:97], -v[15:16]
	v_fma_f64 v[7:8], v[7:8], v[96:97], v[17:18]
	;; [unrolled: 2-line block ×6, first 2 shown]
	v_add_f64 v[152:153], v[1:2], v[11:12]
	v_add_f64 v[154:155], v[3:4], v[13:14]
	;; [unrolled: 1-line block ×4, first 2 shown]
	v_add_f64 v[5:6], v[5:6], -v[15:16]
	v_add_f64 v[7:8], v[7:8], -v[17:18]
	v_add_f64 v[15:16], v[144:145], v[148:149]
	v_add_f64 v[17:18], v[146:147], v[150:151]
	v_add_f64 v[144:145], v[148:149], -v[144:145]
	v_add_f64 v[146:147], v[150:151], -v[146:147]
	;; [unrolled: 1-line block ×4, first 2 shown]
	v_add_f64 v[1:2], v[156:157], v[152:153]
	v_add_f64 v[3:4], v[158:159], v[154:155]
	v_add_f64 v[148:149], v[152:153], -v[15:16]
	v_add_f64 v[150:151], v[154:155], -v[17:18]
	;; [unrolled: 1-line block ×6, first 2 shown]
	v_add_f64 v[5:6], v[144:145], v[5:6]
	v_add_f64 v[7:8], v[146:147], v[7:8]
	v_add_f64 v[144:145], v[11:12], -v[144:145]
	v_add_f64 v[146:147], v[13:14], -v[146:147]
	v_add_f64 v[152:153], v[156:157], -v[152:153]
	v_add_f64 v[154:155], v[158:159], -v[154:155]
	v_add_f64 v[168:169], v[15:16], v[1:2]
	v_add_f64 v[170:171], v[17:18], v[3:4]
	ds_read_b128 v[1:4], v10
	v_add_f64 v[15:16], v[15:16], -v[156:157]
	v_add_f64 v[17:18], v[17:18], -v[158:159]
	v_mul_f64 v[148:149], v[148:149], s[12:13]
	v_mul_f64 v[150:151], v[150:151], s[12:13]
	;; [unrolled: 1-line block ×6, first 2 shown]
	v_add_f64 v[5:6], v[5:6], v[11:12]
	v_add_f64 v[7:8], v[7:8], v[13:14]
	s_waitcnt lgkmcnt(0)
	v_add_f64 v[1:2], v[1:2], v[168:169]
	v_add_f64 v[3:4], v[3:4], v[170:171]
	v_mul_f64 v[156:157], v[15:16], s[4:5]
	v_mul_f64 v[158:159], v[17:18], s[4:5]
	v_fma_f64 v[11:12], v[15:16], s[4:5], v[148:149]
	v_fma_f64 v[13:14], v[17:18], s[4:5], v[150:151]
	;; [unrolled: 1-line block ×4, first 2 shown]
	v_fma_f64 v[160:161], v[164:165], s[14:15], -v[160:161]
	v_fma_f64 v[162:163], v[166:167], s[14:15], -v[162:163]
	;; [unrolled: 1-line block ×6, first 2 shown]
	v_fma_f64 v[164:165], v[168:169], s[16:17], v[1:2]
	v_fma_f64 v[166:167], v[170:171], s[16:17], v[3:4]
	v_fma_f64 v[152:153], v[152:153], s[20:21], -v[156:157]
	v_fma_f64 v[154:155], v[154:155], s[20:21], -v[158:159]
	v_fma_f64 v[15:16], v[5:6], s[28:29], v[15:16]
	v_fma_f64 v[17:18], v[7:8], s[28:29], v[17:18]
	;; [unrolled: 1-line block ×6, first 2 shown]
	v_add_f64 v[11:12], v[11:12], v[164:165]
	v_add_f64 v[13:14], v[13:14], v[166:167]
	;; [unrolled: 1-line block ×7, first 2 shown]
	v_add_f64 v[7:8], v[13:14], -v[15:16]
	v_add_f64 v[144:145], v[160:161], v[148:149]
	v_add_f64 v[146:147], v[150:151], -v[162:163]
	v_add_f64 v[152:153], v[164:165], -v[156:157]
	v_add_f64 v[154:155], v[158:159], v[166:167]
	v_add_f64 v[156:157], v[156:157], v[164:165]
	v_add_f64 v[158:159], v[166:167], -v[158:159]
	v_add_f64 v[160:161], v[148:149], -v[160:161]
	v_add_f64 v[162:163], v[162:163], v[150:151]
	v_add_f64 v[148:149], v[11:12], -v[17:18]
	v_add_f64 v[150:151], v[15:16], v[13:14]
	v_add_co_u32 v11, s1, 0x7000, v255
	v_add_co_ci_u32_e64 v12, s1, 0, v178, s1
	v_add_co_u32 v13, s1, 0x5800, v255
	v_add_co_ci_u32_e64 v14, s1, 0, v178, s1
	;; [unrolled: 2-line block ×4, first 2 shown]
	ds_write_b128 v10, v[1:4]
	ds_write_b128 v10, v[5:8] offset:2912
	ds_write_b128 v10, v[144:147] offset:5824
	;; [unrolled: 1-line block ×6, first 2 shown]
	s_waitcnt lgkmcnt(0)
	s_barrier
	buffer_gl0_inv
	s_clause 0x2
	global_load_dwordx4 v[1:4], v[179:180], off offset:1952
	global_load_dwordx4 v[5:8], v[11:12], off offset:1904
	;; [unrolled: 1-line block ×3, first 2 shown]
	v_add_co_u32 v11, s1, 0x8800, v255
	v_add_co_ci_u32_e64 v12, s1, 0, v178, s1
	s_clause 0x2
	global_load_dwordx4 v[152:155], v[15:16], off offset:720
	global_load_dwordx4 v[156:159], v[17:18], off offset:1632
	;; [unrolled: 1-line block ×3, first 2 shown]
	ds_read_b128 v[164:167], v10
	ds_read_b128 v[168:171], v10 offset:10192
	ds_read_b128 v[172:175], v10 offset:2912
	;; [unrolled: 1-line block ×5, first 2 shown]
	s_waitcnt vmcnt(5) lgkmcnt(5)
	v_mul_f64 v[11:12], v[166:167], v[3:4]
	v_mul_f64 v[3:4], v[164:165], v[3:4]
	s_waitcnt vmcnt(4) lgkmcnt(4)
	v_mul_f64 v[13:14], v[170:171], v[7:8]
	v_mul_f64 v[7:8], v[168:169], v[7:8]
	;; [unrolled: 3-line block ×6, first 2 shown]
	v_fma_f64 v[162:163], v[164:165], v[1:2], -v[11:12]
	v_fma_f64 v[164:165], v[166:167], v[1:2], v[3:4]
	v_fma_f64 v[1:2], v[168:169], v[5:6], -v[13:14]
	v_fma_f64 v[3:4], v[170:171], v[5:6], v[7:8]
	;; [unrolled: 2-line block ×6, first 2 shown]
	ds_write_b128 v10, v[162:165]
	ds_write_b128 v10, v[1:4] offset:10192
	ds_write_b128 v10, v[5:8] offset:2912
	;; [unrolled: 1-line block ×5, first 2 shown]
	s_and_saveexec_b32 s2, vcc_lo
	s_cbranch_execz .LBB0_13
; %bb.12:
	v_add_co_u32 v3, s1, 0x4fa0, v255
	v_add_co_ci_u32_e64 v4, s1, 0, v178, s1
	v_add_co_u32 v1, s1, 0x2000, v3
	v_add_co_ci_u32_e64 v2, s1, 0, v4, s1
	;; [unrolled: 2-line block ×3, first 2 shown]
	s_clause 0x1
	global_load_dwordx4 v[1:4], v[1:2], off offset:544
	global_load_dwordx4 v[5:8], v[5:6], off offset:496
	ds_read_b128 v[144:147], v10 offset:8736
	ds_read_b128 v[152:155], v10 offset:18928
	s_waitcnt vmcnt(1) lgkmcnt(1)
	v_mul_f64 v[11:12], v[146:147], v[3:4]
	v_mul_f64 v[3:4], v[144:145], v[3:4]
	s_waitcnt vmcnt(0) lgkmcnt(0)
	v_mul_f64 v[13:14], v[154:155], v[7:8]
	v_mul_f64 v[7:8], v[152:153], v[7:8]
	v_fma_f64 v[144:145], v[144:145], v[1:2], -v[11:12]
	v_fma_f64 v[146:147], v[146:147], v[1:2], v[3:4]
	v_fma_f64 v[1:2], v[152:153], v[5:6], -v[13:14]
	v_fma_f64 v[3:4], v[154:155], v[5:6], v[7:8]
	ds_write_b128 v10, v[144:147] offset:8736
	ds_write_b128 v10, v[1:4] offset:18928
.LBB0_13:
	s_or_b32 exec_lo, exec_lo, s2
	s_waitcnt lgkmcnt(0)
	s_barrier
	buffer_gl0_inv
	ds_read_b128 v[156:159], v10
	ds_read_b128 v[168:171], v10 offset:2912
	ds_read_b128 v[160:163], v10 offset:10192
	;; [unrolled: 1-line block ×5, first 2 shown]
	buffer_load_dword v1, off, s[44:47], 0 offset:116 ; 4-byte Folded Reload
	s_waitcnt vmcnt(0)
	v_add_nc_u32_e32 v2, 0x16c0, v1
	v_add_nc_u32_e32 v1, 0x2d80, v1
	s_and_saveexec_b32 s1, vcc_lo
	s_cbranch_execz .LBB0_15
; %bb.14:
	ds_read_b128 v[148:151], v10 offset:8736
	ds_read_b128 v[140:143], v10 offset:18928
.LBB0_15:
	s_or_b32 exec_lo, exec_lo, s1
	s_waitcnt lgkmcnt(0)
	s_barrier
	buffer_gl0_inv
	buffer_load_dword v3, off, s[44:47], 0 offset:112 ; 4-byte Folded Reload
	v_add_f64 v[164:165], v[156:157], -v[160:161]
	v_add_f64 v[166:167], v[158:159], -v[162:163]
	;; [unrolled: 1-line block ×8, first 2 shown]
	v_fma_f64 v[140:141], v[156:157], 2.0, -v[164:165]
	v_fma_f64 v[142:143], v[158:159], 2.0, -v[166:167]
	v_fma_f64 v[168:169], v[168:169], 2.0, -v[160:161]
	v_fma_f64 v[170:171], v[170:171], 2.0, -v[162:163]
	v_fma_f64 v[156:157], v[172:173], 2.0, -v[152:153]
	v_fma_f64 v[158:159], v[174:175], 2.0, -v[154:155]
	v_fma_f64 v[148:149], v[148:149], 2.0, -v[144:145]
	v_fma_f64 v[150:151], v[150:151], 2.0, -v[146:147]
	s_waitcnt vmcnt(0)
	ds_write_b128 v3, v[164:167] offset:16
	ds_write_b128 v2, v[160:163] offset:16
	ds_write_b128 v3, v[140:143]
	ds_write_b128 v2, v[168:171]
	;; [unrolled: 1-line block ×3, first 2 shown]
	ds_write_b128 v1, v[152:155] offset:16
	s_and_saveexec_b32 s1, vcc_lo
	s_cbranch_execz .LBB0_17
; %bb.16:
	buffer_load_dword v1, off, s[44:47], 0 offset:108 ; 4-byte Folded Reload
	s_waitcnt vmcnt(0)
	ds_write_b128 v1, v[148:151]
	ds_write_b128 v1, v[144:147] offset:16
.LBB0_17:
	s_or_b32 exec_lo, exec_lo, s1
	s_waitcnt lgkmcnt(0)
	s_barrier
	buffer_gl0_inv
	s_and_saveexec_b32 s1, s0
	s_cbranch_execz .LBB0_19
; %bb.18:
	ds_read_b128 v[140:143], v10
	ds_read_b128 v[164:167], v10 offset:1568
	ds_read_b128 v[168:171], v10 offset:3136
	;; [unrolled: 1-line block ×12, first 2 shown]
.LBB0_19:
	s_or_b32 exec_lo, exec_lo, s1
	s_waitcnt lgkmcnt(0)
	s_barrier
	buffer_gl0_inv
	s_and_saveexec_b32 s33, s0
	s_cbranch_execz .LBB0_21
; %bb.20:
	v_mul_f64 v[1:2], v[46:47], v[166:167]
	v_mul_f64 v[3:4], v[34:35], v[152:153]
	;; [unrolled: 1-line block ×4, first 2 shown]
	s_mov_b32 s31, 0x3fddbe06
	s_mov_b32 s30, 0x4267c47c
	s_mov_b32 s14, 0x66966769
	s_mov_b32 s20, 0x42a4c3d2
	s_mov_b32 s4, 0x24c2f84
	s_mov_b32 s24, 0x4bc48dbf
	s_mov_b32 s26, 0x2ef20147
	s_mov_b32 s15, 0x3fefc445
	s_mov_b32 s21, 0x3fea55e2
	s_mov_b32 s5, 0xbfe5384d
	s_mov_b32 s25, 0xbfcea1e5
	s_mov_b32 s23, 0xbfea55e2
	s_mov_b32 s22, s20
	s_mov_b32 s27, 0xbfedeba7
	s_mov_b32 s29, 0xbfefc445
	s_mov_b32 s28, s14
	s_mov_b32 s12, 0xebaa3ed8
	s_mov_b32 s0, 0x1ea71119
	v_fma_f64 v[172:173], v[44:45], v[164:165], v[1:2]
	v_mul_f64 v[1:2], v[46:47], v[164:165]
	s_mov_b32 s2, 0xd0032e0c
	s_mov_b32 s16, 0xe00740e9
	;; [unrolled: 1-line block ×12, first 2 shown]
	buffer_load_dword v9, off, s[44:47], 0 offset:104 ; 4-byte Folded Reload
	v_fma_f64 v[164:165], v[44:45], v[166:167], -v[1:2]
	v_mul_f64 v[1:2], v[94:95], v[134:135]
	v_fma_f64 v[44:45], v[92:93], v[132:133], v[1:2]
	v_mul_f64 v[1:2], v[94:95], v[132:133]
	v_add_f64 v[187:188], v[172:173], v[44:45]
	v_fma_f64 v[46:47], v[92:93], v[134:135], -v[1:2]
	v_mul_f64 v[1:2], v[58:59], v[170:171]
	v_add_f64 v[15:16], v[164:165], v[46:47]
	v_fma_f64 v[92:93], v[56:57], v[168:169], v[1:2]
	v_mul_f64 v[1:2], v[58:59], v[168:169]
	v_fma_f64 v[94:95], v[56:57], v[170:171], -v[1:2]
	v_mul_f64 v[1:2], v[90:91], v[138:139]
	v_fma_f64 v[56:57], v[88:89], v[136:137], v[1:2]
	v_mul_f64 v[1:2], v[90:91], v[136:137]
	v_fma_f64 v[58:59], v[88:89], v[138:139], -v[1:2]
	v_mul_f64 v[1:2], v[50:51], v[162:163]
	v_add_f64 v[207:208], v[94:95], v[58:59]
	v_fma_f64 v[88:89], v[48:49], v[160:161], v[1:2]
	v_mul_f64 v[1:2], v[50:51], v[160:161]
	v_fma_f64 v[90:91], v[48:49], v[162:163], -v[1:2]
	v_mul_f64 v[1:2], v[62:63], v[130:131]
	v_fma_f64 v[48:49], v[60:61], v[128:129], v[1:2]
	v_mul_f64 v[1:2], v[62:63], v[128:129]
	v_add_f64 v[209:210], v[88:89], v[48:49]
	v_fma_f64 v[50:51], v[60:61], v[130:131], -v[1:2]
	v_mul_f64 v[1:2], v[42:43], v[158:159]
	v_fma_f64 v[60:61], v[40:41], v[156:157], v[1:2]
	v_mul_f64 v[1:2], v[42:43], v[156:157]
	v_fma_f64 v[62:63], v[40:41], v[158:159], -v[1:2]
	v_mul_f64 v[1:2], v[54:55], v[126:127]
	v_fma_f64 v[40:41], v[52:53], v[124:125], v[1:2]
	v_mul_f64 v[1:2], v[54:55], v[124:125]
	v_fma_f64 v[124:125], v[24:25], v[150:151], -v[7:8]
	v_add_f64 v[213:214], v[60:61], v[40:41]
	v_fma_f64 v[42:43], v[52:53], v[126:127], -v[1:2]
	v_mul_f64 v[1:2], v[34:35], v[154:155]
	v_fma_f64 v[52:53], v[32:33], v[154:155], -v[3:4]
	v_mul_f64 v[3:4], v[38:39], v[120:121]
	v_add_f64 v[136:137], v[62:63], -v[42:43]
	v_fma_f64 v[34:35], v[32:33], v[152:153], v[1:2]
	v_mul_f64 v[1:2], v[38:39], v[122:123]
	v_fma_f64 v[54:55], v[36:37], v[122:123], -v[3:4]
	v_mul_f64 v[3:4], v[30:31], v[144:145]
	v_fma_f64 v[122:123], v[24:25], v[148:149], v[5:6]
	v_add_f64 v[32:33], v[92:93], -v[56:57]
	v_add_f64 v[211:212], v[62:63], v[42:43]
	v_mul_f64 v[148:149], v[136:137], s[30:31]
	v_fma_f64 v[38:39], v[36:37], v[120:121], v[1:2]
	v_mul_f64 v[1:2], v[30:31], v[146:147]
	v_fma_f64 v[130:131], v[28:29], v[146:147], -v[3:4]
	v_add_f64 v[24:25], v[52:53], -v[54:55]
	v_add_f64 v[36:37], v[88:89], -v[48:49]
	;; [unrolled: 1-line block ×4, first 2 shown]
	v_mul_f64 v[154:155], v[32:33], s[30:31]
	v_add_f64 v[26:27], v[34:35], -v[38:39]
	v_fma_f64 v[126:127], v[28:29], v[144:145], v[1:2]
	v_add_f64 v[28:29], v[94:95], -v[58:59]
	v_add_f64 v[128:129], v[124:125], -v[130:131]
	;; [unrolled: 1-line block ×3, first 2 shown]
	v_mul_f64 v[144:145], v[24:25], s[30:31]
	v_mul_f64 v[134:135], v[36:37], s[30:31]
	v_mul_f64 v[138:139], v[30:31], s[30:31]
	v_mul_f64 v[150:151], v[120:121], s[30:31]
	v_add_f64 v[172:173], v[140:141], v[172:173]
	v_mul_f64 v[221:222], v[24:25], s[26:27]
	v_add_f64 v[225:226], v[124:125], v[130:131]
	v_mul_f64 v[146:147], v[26:27], s[30:31]
	v_add_f64 v[132:133], v[122:123], -v[126:127]
	v_mul_f64 v[152:153], v[28:29], s[30:31]
	v_mul_f64 v[156:157], v[128:129], s[30:31]
	;; [unrolled: 1-line block ×8, first 2 shown]
	v_add_f64 v[229:230], v[122:123], v[126:127]
	v_mul_f64 v[231:232], v[128:129], s[14:15]
	v_mul_f64 v[158:159], v[132:133], s[30:31]
	s_mov_b32 s31, 0xbfddbe06
	v_mul_f64 v[227:228], v[132:133], s[14:15]
	v_mul_f64 v[1:2], v[1:2], s[30:31]
	v_fma_f64 v[17:18], v[15:16], s[18:19], v[3:4]
	v_fma_f64 v[3:4], v[15:16], s[18:19], -v[3:4]
	v_fma_f64 v[160:161], v[15:16], s[2:3], v[5:6]
	v_fma_f64 v[5:6], v[15:16], s[2:3], -v[5:6]
	;; [unrolled: 2-line block ×4, first 2 shown]
	v_fma_f64 v[168:169], v[15:16], s[0:1], -v[13:14]
	v_fma_f64 v[13:14], v[15:16], s[0:1], v[13:14]
	v_fma_f64 v[170:171], v[15:16], s[16:17], -v[1:2]
	v_fma_f64 v[1:2], v[15:16], s[16:17], v[1:2]
	v_add_f64 v[15:16], v[164:165], -v[46:47]
	v_add_f64 v[17:18], v[142:143], v[17:18]
	v_add_f64 v[201:202], v[142:143], v[5:6]
	v_mul_f64 v[5:6], v[36:37], s[4:5]
	v_add_f64 v[203:204], v[142:143], v[7:8]
	v_add_f64 v[160:161], v[142:143], v[160:161]
	;; [unrolled: 1-line block ×10, first 2 shown]
	v_mul_f64 v[174:175], v[15:16], s[24:25]
	v_fma_f64 v[1:2], v[207:208], s[16:17], v[154:155]
	v_mul_f64 v[176:177], v[15:16], s[4:5]
	v_mul_f64 v[181:182], v[15:16], s[26:27]
	;; [unrolled: 1-line block ×5, first 2 shown]
	v_add_f64 v[94:95], v[164:165], v[94:95]
	v_fma_f64 v[154:155], v[207:208], s[16:17], -v[154:155]
	s_mov_b32 s31, 0x3fcea1e5
	s_mov_b32 s30, s24
	v_fma_f64 v[189:190], v[187:188], s[18:19], -v[174:175]
	v_add_f64 v[1:2], v[1:2], v[17:18]
	v_add_f64 v[17:18], v[92:93], v[56:57]
	v_fma_f64 v[174:175], v[187:188], s[18:19], v[174:175]
	v_fma_f64 v[191:192], v[187:188], s[2:3], -v[176:177]
	v_fma_f64 v[176:177], v[187:188], s[2:3], v[176:177]
	v_fma_f64 v[193:194], v[187:188], s[34:35], -v[181:182]
	v_fma_f64 v[181:182], v[187:188], s[34:35], v[181:182]
	v_fma_f64 v[195:196], v[187:188], s[12:13], -v[183:184]
	v_fma_f64 v[183:184], v[187:188], s[12:13], v[183:184]
	v_fma_f64 v[197:198], v[187:188], s[0:1], v[15:16]
	v_fma_f64 v[15:16], v[187:188], s[0:1], -v[15:16]
	v_fma_f64 v[199:200], v[187:188], s[16:17], v[185:186]
	v_fma_f64 v[185:186], v[187:188], s[16:17], -v[185:186]
	v_add_f64 v[92:93], v[172:173], v[92:93]
	v_add_f64 v[187:188], v[140:141], v[189:190]
	;; [unrolled: 1-line block ×3, first 2 shown]
	v_fma_f64 v[3:4], v[17:18], s[16:17], -v[152:153]
	v_add_f64 v[174:175], v[140:141], v[174:175]
	v_add_f64 v[191:192], v[140:141], v[191:192]
	;; [unrolled: 1-line block ×12, first 2 shown]
	v_fma_f64 v[152:153], v[17:18], s[16:17], v[152:153]
	v_mul_f64 v[92:93], v[32:33], s[26:27]
	v_add_f64 v[154:155], v[154:155], v[189:190]
	v_add_f64 v[3:4], v[3:4], v[187:188]
	;; [unrolled: 1-line block ×4, first 2 shown]
	v_mul_f64 v[94:95], v[28:29], s[26:27]
	v_add_f64 v[60:61], v[88:89], v[60:61]
	v_add_f64 v[152:153], v[152:153], v[174:175]
	v_mul_f64 v[88:89], v[132:133], s[24:25]
	v_fma_f64 v[7:8], v[187:188], s[2:3], v[5:6]
	v_fma_f64 v[5:6], v[187:188], s[2:3], -v[5:6]
	v_add_f64 v[62:63], v[90:91], v[62:63]
	v_mul_f64 v[90:91], v[128:129], s[24:25]
	v_add_f64 v[1:2], v[7:8], v[1:2]
	v_mul_f64 v[7:8], v[30:31], s[4:5]
	v_add_f64 v[5:6], v[5:6], v[154:155]
	v_mul_f64 v[154:155], v[28:29], s[14:15]
	v_fma_f64 v[140:141], v[209:210], s[2:3], -v[7:8]
	v_fma_f64 v[7:8], v[209:210], s[2:3], v[7:8]
	v_add_f64 v[3:4], v[140:141], v[3:4]
	v_mul_f64 v[140:141], v[120:121], s[20:21]
	v_add_f64 v[7:8], v[7:8], v[152:153]
	v_mul_f64 v[152:153], v[32:33], s[14:15]
	v_fma_f64 v[142:143], v[211:212], s[0:1], v[140:141]
	v_fma_f64 v[140:141], v[211:212], s[0:1], -v[140:141]
	v_add_f64 v[1:2], v[142:143], v[1:2]
	v_mul_f64 v[142:143], v[136:137], s[20:21]
	v_add_f64 v[5:6], v[140:141], v[5:6]
	v_fma_f64 v[215:216], v[213:214], s[0:1], -v[142:143]
	v_fma_f64 v[140:141], v[213:214], s[0:1], v[142:143]
	v_fma_f64 v[142:143], v[229:230], s[12:13], v[231:232]
	v_add_f64 v[3:4], v[215:216], v[3:4]
	v_add_f64 v[215:216], v[52:53], v[54:55]
	;; [unrolled: 1-line block ×4, first 2 shown]
	v_mul_f64 v[62:63], v[24:25], s[4:5]
	v_fma_f64 v[219:220], v[215:216], s[34:35], v[217:218]
	v_add_f64 v[52:53], v[52:53], v[124:125]
	v_fma_f64 v[140:141], v[215:216], s[34:35], -v[217:218]
	v_add_f64 v[1:2], v[219:220], v[1:2]
	v_add_f64 v[219:220], v[34:35], v[38:39]
	;; [unrolled: 1-line block ×5, first 2 shown]
	v_mul_f64 v[60:61], v[26:27], s[4:5]
	v_fma_f64 v[140:141], v[219:220], s[34:35], v[221:222]
	v_add_f64 v[34:35], v[34:35], v[122:123]
	v_add_f64 v[52:53], v[52:53], v[54:55]
	v_mul_f64 v[54:55], v[30:31], s[28:29]
	v_fma_f64 v[223:224], v[219:220], s[34:35], -v[221:222]
	v_mul_f64 v[221:222], v[132:133], s[26:27]
	v_mul_f64 v[122:123], v[36:37], s[24:25]
	v_add_f64 v[140:141], v[140:141], v[7:8]
	v_add_f64 v[34:35], v[34:35], v[126:127]
	v_fma_f64 v[7:8], v[225:226], s[12:13], -v[227:228]
	v_add_f64 v[223:224], v[223:224], v[3:4]
	v_fma_f64 v[3:4], v[225:226], s[12:13], v[227:228]
	v_fma_f64 v[124:125], v[187:188], s[18:19], -v[122:123]
	v_add_f64 v[34:35], v[34:35], v[38:39]
	v_add_f64 v[38:39], v[52:53], v[42:43]
	;; [unrolled: 1-line block ×4, first 2 shown]
	v_fma_f64 v[140:141], v[207:208], s[12:13], v[152:153]
	v_fma_f64 v[142:143], v[17:18], s[12:13], -v[154:155]
	v_mul_f64 v[52:53], v[36:37], s[28:29]
	v_fma_f64 v[152:153], v[207:208], s[12:13], -v[152:153]
	v_fma_f64 v[154:155], v[17:18], s[12:13], v[154:155]
	v_add_f64 v[3:4], v[3:4], v[1:2]
	v_fma_f64 v[1:2], v[229:230], s[12:13], -v[231:232]
	v_add_f64 v[34:35], v[34:35], v[40:41]
	v_add_f64 v[38:39], v[38:39], v[50:51]
	v_mul_f64 v[50:51], v[28:29], s[22:23]
	v_add_f64 v[140:141], v[140:141], v[160:161]
	v_mul_f64 v[160:161], v[36:37], s[22:23]
	v_add_f64 v[142:143], v[142:143], v[191:192]
	v_add_f64 v[152:153], v[152:153], v[201:202]
	;; [unrolled: 1-line block ×3, first 2 shown]
	v_mul_f64 v[201:202], v[132:133], s[20:21]
	v_add_f64 v[1:2], v[1:2], v[223:224]
	v_mul_f64 v[223:224], v[128:129], s[26:27]
	v_add_f64 v[34:35], v[34:35], v[48:49]
	v_add_f64 v[38:39], v[38:39], v[58:59]
	v_mul_f64 v[58:59], v[136:137], s[26:27]
	v_fma_f64 v[48:49], v[17:18], s[34:35], v[94:95]
	v_fma_f64 v[174:175], v[187:188], s[0:1], v[160:161]
	v_fma_f64 v[160:161], v[187:188], s[0:1], -v[160:161]
	v_add_f64 v[34:35], v[34:35], v[56:57]
	v_add_f64 v[40:41], v[38:39], v[46:47]
	v_fma_f64 v[46:47], v[187:188], s[12:13], -v[52:53]
	v_mul_f64 v[56:57], v[120:121], s[26:27]
	v_add_f64 v[48:49], v[48:49], v[197:198]
	v_add_f64 v[140:141], v[174:175], v[140:141]
	v_mul_f64 v[174:175], v[30:31], s[22:23]
	v_add_f64 v[152:153], v[160:161], v[152:153]
	s_mov_b32 s27, 0x3fedeba7
	v_mul_f64 v[36:37], v[36:37], s[26:27]
	v_add_f64 v[38:39], v[34:35], v[44:45]
	v_mul_f64 v[34:35], v[32:33], s[22:23]
	v_fma_f64 v[44:45], v[17:18], s[0:1], v[50:51]
	v_fma_f64 v[189:190], v[209:210], s[0:1], -v[174:175]
	v_fma_f64 v[160:161], v[209:210], s[0:1], v[174:175]
	v_fma_f64 v[174:175], v[187:188], s[16:17], v[134:135]
	v_fma_f64 v[134:135], v[187:188], s[16:17], -v[134:135]
	v_fma_f64 v[42:43], v[207:208], s[0:1], -v[34:35]
	v_add_f64 v[44:45], v[44:45], v[199:200]
	v_fma_f64 v[34:35], v[207:208], s[0:1], v[34:35]
	v_add_f64 v[142:143], v[189:190], v[142:143]
	v_mul_f64 v[189:190], v[120:121], s[30:31]
	v_add_f64 v[154:155], v[160:161], v[154:155]
	v_add_f64 v[42:43], v[42:43], v[170:171]
	;; [unrolled: 1-line block ×3, first 2 shown]
	v_fma_f64 v[191:192], v[211:212], s[18:19], v[189:190]
	v_fma_f64 v[160:161], v[211:212], s[18:19], -v[189:190]
	v_add_f64 v[42:43], v[46:47], v[42:43]
	v_fma_f64 v[46:47], v[209:210], s[12:13], v[54:55]
	v_add_f64 v[140:141], v[191:192], v[140:141]
	v_mul_f64 v[191:192], v[136:137], s[30:31]
	v_add_f64 v[152:153], v[160:161], v[152:153]
	v_add_f64 v[44:45], v[46:47], v[44:45]
	v_fma_f64 v[46:47], v[211:212], s[34:35], -v[56:57]
	v_fma_f64 v[217:218], v[213:214], s[18:19], -v[191:192]
	v_fma_f64 v[160:161], v[213:214], s[18:19], v[191:192]
	v_add_f64 v[42:43], v[46:47], v[42:43]
	v_fma_f64 v[46:47], v[213:214], s[34:35], v[58:59]
	v_fma_f64 v[58:59], v[213:214], s[34:35], -v[58:59]
	v_add_f64 v[142:143], v[217:218], v[142:143]
	v_fma_f64 v[217:218], v[215:216], s[16:17], v[146:147]
	v_fma_f64 v[146:147], v[215:216], s[16:17], -v[146:147]
	v_add_f64 v[154:155], v[160:161], v[154:155]
	v_mul_f64 v[160:161], v[32:33], s[36:37]
	v_mul_f64 v[32:33], v[32:33], s[24:25]
	v_add_f64 v[44:45], v[46:47], v[44:45]
	v_fma_f64 v[46:47], v[215:216], s[2:3], -v[60:61]
	v_add_f64 v[140:141], v[217:218], v[140:141]
	v_add_f64 v[146:147], v[146:147], v[152:153]
	v_fma_f64 v[152:153], v[225:226], s[34:35], -v[221:222]
	v_fma_f64 v[217:218], v[219:220], s[16:17], -v[144:145]
	v_fma_f64 v[144:145], v[219:220], s[16:17], v[144:145]
	v_add_f64 v[42:43], v[46:47], v[42:43]
	v_fma_f64 v[46:47], v[219:220], s[2:3], v[62:63]
	v_add_f64 v[146:147], v[152:153], v[146:147]
	;; [unrolled: 2-line block ×3, first 2 shown]
	v_fma_f64 v[154:155], v[229:230], s[34:35], v[223:224]
	v_fma_f64 v[160:161], v[207:208], s[2:3], -v[160:161]
	v_add_f64 v[217:218], v[217:218], v[142:143]
	v_fma_f64 v[142:143], v[225:226], s[34:35], v[221:222]
	v_add_f64 v[46:47], v[46:47], v[44:45]
	v_fma_f64 v[44:45], v[225:226], s[18:19], -v[88:89]
	v_add_f64 v[152:153], v[152:153], v[162:163]
	v_mul_f64 v[162:163], v[28:29], s[36:37]
	v_add_f64 v[144:145], v[154:155], v[144:145]
	v_mul_f64 v[28:29], v[28:29], s[24:25]
	v_add_f64 v[160:161], v[160:161], v[203:204]
	v_add_f64 v[142:143], v[142:143], v[140:141]
	v_fma_f64 v[140:141], v[229:230], s[34:35], -v[223:224]
	v_add_f64 v[44:45], v[44:45], v[42:43]
	v_fma_f64 v[42:43], v[229:230], s[18:19], v[90:91]
	v_add_f64 v[152:153], v[174:175], v[152:153]
	v_fma_f64 v[154:155], v[17:18], s[2:3], -v[162:163]
	v_fma_f64 v[174:175], v[209:210], s[16:17], -v[138:139]
	v_fma_f64 v[162:163], v[17:18], s[2:3], v[162:163]
	v_add_f64 v[134:135], v[134:135], v[160:161]
	v_fma_f64 v[138:139], v[209:210], s[16:17], v[138:139]
	v_add_f64 v[140:141], v[140:141], v[217:218]
	v_mul_f64 v[217:218], v[128:129], s[20:21]
	v_add_f64 v[42:43], v[42:43], v[46:47]
	v_fma_f64 v[46:47], v[207:208], s[34:35], -v[92:93]
	v_add_f64 v[154:155], v[154:155], v[193:194]
	v_add_f64 v[162:163], v[162:163], v[181:182]
	;; [unrolled: 1-line block ×4, first 2 shown]
	v_mul_f64 v[174:175], v[120:121], s[28:29]
	v_mul_f64 v[120:121], v[120:121], s[36:37]
	v_add_f64 v[138:139], v[138:139], v[162:163]
	v_add_f64 v[46:47], v[124:125], v[46:47]
	v_mul_f64 v[124:125], v[30:31], s[24:25]
	v_mul_f64 v[30:31], v[30:31], s[26:27]
	v_fma_f64 v[176:177], v[211:212], s[12:13], v[174:175]
	v_fma_f64 v[160:161], v[211:212], s[12:13], -v[174:175]
	v_fma_f64 v[126:127], v[209:210], s[18:19], v[124:125]
	v_fma_f64 v[168:169], v[209:210], s[34:35], v[30:31]
	v_fma_f64 v[30:31], v[209:210], s[34:35], -v[30:31]
	v_add_f64 v[152:153], v[176:177], v[152:153]
	v_mul_f64 v[176:177], v[136:137], s[28:29]
	v_add_f64 v[134:135], v[160:161], v[134:135]
	v_add_f64 v[48:49], v[126:127], v[48:49]
	v_fma_f64 v[126:127], v[211:212], s[2:3], -v[120:121]
	v_fma_f64 v[189:190], v[213:214], s[12:13], -v[176:177]
	v_fma_f64 v[160:161], v[213:214], s[12:13], v[176:177]
	v_add_f64 v[46:47], v[126:127], v[46:47]
	v_mul_f64 v[126:127], v[136:137], s[36:37]
	v_add_f64 v[154:155], v[189:190], v[154:155]
	v_mul_f64 v[189:190], v[26:27], s[30:31]
	v_add_f64 v[138:139], v[160:161], v[138:139]
	v_fma_f64 v[130:131], v[213:214], s[2:3], v[126:127]
	v_fma_f64 v[191:192], v[215:216], s[18:19], v[189:190]
	v_fma_f64 v[160:161], v[215:216], s[18:19], -v[189:190]
	v_add_f64 v[48:49], v[130:131], v[48:49]
	v_mul_f64 v[130:131], v[26:27], s[14:15]
	v_mul_f64 v[26:27], v[26:27], s[22:23]
	v_add_f64 v[152:153], v[191:192], v[152:153]
	v_mul_f64 v[191:192], v[24:25], s[30:31]
	v_add_f64 v[134:135], v[160:161], v[134:135]
	v_fma_f64 v[136:137], v[215:216], s[12:13], -v[130:131]
	v_fma_f64 v[193:194], v[219:220], s[18:19], -v[191:192]
	v_fma_f64 v[160:161], v[219:220], s[18:19], v[191:192]
	v_add_f64 v[46:47], v[136:137], v[46:47]
	v_mul_f64 v[136:137], v[24:25], s[14:15]
	v_mul_f64 v[24:25], v[24:25], s[22:23]
	v_add_f64 v[193:194], v[193:194], v[154:155]
	v_fma_f64 v[154:155], v[225:226], s[0:1], v[201:202]
	v_add_f64 v[138:139], v[160:161], v[138:139]
	v_fma_f64 v[164:165], v[219:220], s[12:13], v[136:137]
	v_add_f64 v[154:155], v[154:155], v[152:153]
	v_fma_f64 v[152:153], v[229:230], s[0:1], -v[217:218]
	v_add_f64 v[164:165], v[164:165], v[48:49]
	v_fma_f64 v[48:49], v[225:226], s[16:17], -v[158:159]
	v_add_f64 v[152:153], v[152:153], v[193:194]
	v_add_f64 v[48:49], v[48:49], v[46:47]
	v_fma_f64 v[46:47], v[229:230], s[16:17], v[156:157]
	v_add_f64 v[46:47], v[46:47], v[164:165]
	v_fma_f64 v[164:165], v[207:208], s[18:19], -v[32:33]
	v_fma_f64 v[32:33], v[207:208], s[18:19], v[32:33]
	v_add_f64 v[11:12], v[164:165], v[11:12]
	v_fma_f64 v[164:165], v[187:188], s[34:35], -v[36:37]
	v_add_f64 v[32:33], v[32:33], v[166:167]
	v_fma_f64 v[36:37], v[187:188], s[34:35], v[36:37]
	v_add_f64 v[11:12], v[164:165], v[11:12]
	v_fma_f64 v[164:165], v[211:212], s[16:17], -v[150:151]
	v_add_f64 v[32:33], v[36:37], v[32:33]
	v_fma_f64 v[36:37], v[17:18], s[34:35], -v[94:95]
	v_add_f64 v[11:12], v[164:165], v[11:12]
	v_fma_f64 v[164:165], v[17:18], s[18:19], v[28:29]
	v_fma_f64 v[28:29], v[17:18], s[18:19], -v[28:29]
	v_add_f64 v[15:16], v[36:37], v[15:16]
	v_fma_f64 v[36:37], v[187:188], s[12:13], v[52:53]
	v_fma_f64 v[17:18], v[17:18], s[0:1], -v[50:51]
	v_fma_f64 v[50:51], v[209:210], s[18:19], -v[124:125]
	;; [unrolled: 1-line block ×3, first 2 shown]
	v_fma_f64 v[54:55], v[211:212], s[34:35], v[56:57]
	v_fma_f64 v[56:57], v[213:214], s[2:3], -v[126:127]
	v_add_f64 v[164:165], v[164:165], v[183:184]
	v_add_f64 v[28:29], v[28:29], v[195:196]
	;; [unrolled: 1-line block ×3, first 2 shown]
	v_fma_f64 v[36:37], v[213:214], s[16:17], -v[148:149]
	v_add_f64 v[15:16], v[50:51], v[15:16]
	v_fma_f64 v[50:51], v[211:212], s[2:3], v[120:121]
	v_add_f64 v[17:18], v[17:18], v[185:186]
	v_add_f64 v[164:165], v[168:169], v[164:165]
	v_fma_f64 v[168:169], v[213:214], s[16:17], v[148:149]
	v_add_f64 v[28:29], v[30:31], v[28:29]
	v_fma_f64 v[30:31], v[207:208], s[34:35], v[92:93]
	v_add_f64 v[34:35], v[54:55], v[34:35]
	v_add_f64 v[15:16], v[56:57], v[15:16]
	;; [unrolled: 1-line block ×3, first 2 shown]
	v_fma_f64 v[52:53], v[219:220], s[2:3], -v[62:63]
	v_fma_f64 v[62:63], v[229:230], s[16:17], -v[156:157]
	v_add_f64 v[164:165], v[168:169], v[164:165]
	v_fma_f64 v[168:169], v[215:216], s[0:1], -v[26:27]
	v_add_f64 v[13:14], v[30:31], v[13:14]
	v_fma_f64 v[30:31], v[187:188], s[18:19], v[122:123]
	v_add_f64 v[28:29], v[36:37], v[28:29]
	v_fma_f64 v[26:27], v[215:216], s[0:1], v[26:27]
	v_fma_f64 v[36:37], v[215:216], s[2:3], v[60:61]
	v_add_f64 v[17:18], v[58:59], v[17:18]
	v_fma_f64 v[58:59], v[225:226], s[18:19], v[88:89]
	v_fma_f64 v[88:89], v[229:230], s[18:19], -v[90:91]
	v_add_f64 v[11:12], v[168:169], v[11:12]
	v_fma_f64 v[168:169], v[219:220], s[0:1], v[24:25]
	v_add_f64 v[13:14], v[30:31], v[13:14]
	v_fma_f64 v[30:31], v[211:212], s[16:17], v[150:151]
	v_fma_f64 v[24:25], v[219:220], s[0:1], -v[24:25]
	v_add_f64 v[36:37], v[36:37], v[34:35]
	v_fma_f64 v[34:35], v[229:230], s[0:1], v[217:218]
	v_add_f64 v[17:18], v[52:53], v[17:18]
	v_add_f64 v[164:165], v[168:169], v[164:165]
	;; [unrolled: 1-line block ×5, first 2 shown]
	v_mul_f64 v[24:25], v[132:133], s[4:5]
	v_fma_f64 v[32:33], v[215:216], s[12:13], v[130:131]
	v_fma_f64 v[50:51], v[219:220], s[12:13], -v[136:137]
	v_fma_f64 v[28:29], v[225:226], s[0:1], -v[201:202]
	v_add_f64 v[54:55], v[26:27], v[30:31]
	v_fma_f64 v[26:27], v[225:226], s[2:3], -v[24:25]
	v_add_f64 v[13:14], v[32:33], v[13:14]
	v_fma_f64 v[32:33], v[225:226], s[2:3], v[24:25]
	v_mul_f64 v[24:25], v[128:129], s[4:5]
	v_add_f64 v[15:16], v[50:51], v[15:16]
	v_fma_f64 v[50:51], v[225:226], s[16:17], v[158:159]
	v_add_f64 v[26:27], v[26:27], v[11:12]
	buffer_load_dword v11, off, s[44:47], 0 offset:100 ; 4-byte Folded Reload
	s_waitcnt vmcnt(1)
	v_mul_u32_u24_e32 v9, 26, v9
	v_fma_f64 v[30:31], v[229:230], s[2:3], v[24:25]
	v_fma_f64 v[60:61], v[229:230], s[2:3], -v[24:25]
	v_add_f64 v[52:53], v[50:51], v[13:14]
	v_add_f64 v[50:51], v[62:63], v[15:16]
	;; [unrolled: 1-line block ×9, first 2 shown]
	s_waitcnt vmcnt(0)
	v_or_b32_e32 v9, v9, v11
	v_lshlrev_b32_e32 v9, 4, v9
	ds_write_b128 v9, v[38:41]
	ds_write_b128 v9, v[42:45] offset:32
	ds_write_b128 v9, v[46:49] offset:64
	;; [unrolled: 1-line block ×12, first 2 shown]
.LBB0_21:
	s_or_b32 exec_lo, exec_lo, s33
	s_waitcnt lgkmcnt(0)
	s_barrier
	buffer_gl0_inv
	ds_read_b128 v[1:4], v10 offset:2912
	ds_read_b128 v[5:8], v10 offset:5824
	;; [unrolled: 1-line block ×6, first 2 shown]
	s_mov_b32 s2, 0x37e14327
	s_mov_b32 s14, 0xe976ee23
	;; [unrolled: 1-line block ×14, first 2 shown]
	s_waitcnt lgkmcnt(5)
	v_mul_f64 v[11:12], v[70:71], v[3:4]
	v_mul_f64 v[13:14], v[70:71], v[1:2]
	s_waitcnt lgkmcnt(4)
	v_mul_f64 v[15:16], v[66:67], v[7:8]
	v_mul_f64 v[17:18], v[66:67], v[5:6]
	;; [unrolled: 3-line block ×6, first 2 shown]
	s_mov_b32 s19, 0xbfe77f67
	s_mov_b32 s23, 0x3fd5d0dc
	;; [unrolled: 1-line block ×6, first 2 shown]
	v_fma_f64 v[1:2], v[68:69], v[1:2], v[11:12]
	v_fma_f64 v[3:4], v[68:69], v[3:4], -v[13:14]
	v_fma_f64 v[5:6], v[64:65], v[5:6], v[15:16]
	v_fma_f64 v[7:8], v[64:65], v[7:8], -v[17:18]
	;; [unrolled: 2-line block ×6, first 2 shown]
	v_add_f64 v[32:33], v[1:2], v[11:12]
	v_add_f64 v[34:35], v[3:4], v[13:14]
	;; [unrolled: 1-line block ×4, first 2 shown]
	v_add_f64 v[5:6], v[5:6], -v[15:16]
	v_add_f64 v[7:8], v[7:8], -v[17:18]
	v_add_f64 v[15:16], v[24:25], v[28:29]
	v_add_f64 v[17:18], v[26:27], v[30:31]
	v_add_f64 v[24:25], v[28:29], -v[24:25]
	v_add_f64 v[26:27], v[30:31], -v[26:27]
	;; [unrolled: 1-line block ×4, first 2 shown]
	ds_read_b128 v[1:4], v10
	s_waitcnt lgkmcnt(0)
	s_barrier
	buffer_gl0_inv
	v_add_f64 v[28:29], v[36:37], v[32:33]
	v_add_f64 v[30:31], v[38:39], v[34:35]
	v_add_f64 v[40:41], v[32:33], -v[15:16]
	v_add_f64 v[42:43], v[34:35], -v[17:18]
	;; [unrolled: 1-line block ×6, first 2 shown]
	v_add_f64 v[5:6], v[24:25], v[5:6]
	v_add_f64 v[7:8], v[26:27], v[7:8]
	v_add_f64 v[24:25], v[11:12], -v[24:25]
	v_add_f64 v[26:27], v[13:14], -v[26:27]
	;; [unrolled: 1-line block ×4, first 2 shown]
	v_add_f64 v[28:29], v[15:16], v[28:29]
	v_add_f64 v[30:31], v[17:18], v[30:31]
	v_add_f64 v[15:16], v[15:16], -v[36:37]
	v_add_f64 v[17:18], v[17:18], -v[38:39]
	v_mul_f64 v[40:41], v[40:41], s[2:3]
	v_mul_f64 v[42:43], v[42:43], s[2:3]
	;; [unrolled: 1-line block ×6, first 2 shown]
	v_add_f64 v[5:6], v[5:6], v[11:12]
	v_add_f64 v[7:8], v[7:8], v[13:14]
	;; [unrolled: 1-line block ×4, first 2 shown]
	v_mul_f64 v[36:37], v[15:16], s[0:1]
	v_mul_f64 v[38:39], v[17:18], s[0:1]
	v_fma_f64 v[11:12], v[15:16], s[0:1], v[40:41]
	v_fma_f64 v[13:14], v[17:18], s[0:1], v[42:43]
	;; [unrolled: 1-line block ×4, first 2 shown]
	v_fma_f64 v[44:45], v[48:49], s[4:5], -v[44:45]
	v_fma_f64 v[46:47], v[50:51], s[4:5], -v[46:47]
	;; [unrolled: 1-line block ×6, first 2 shown]
	v_fma_f64 v[28:29], v[28:29], s[12:13], v[1:2]
	v_fma_f64 v[30:31], v[30:31], s[12:13], v[3:4]
	v_fma_f64 v[32:33], v[32:33], s[16:17], -v[36:37]
	v_fma_f64 v[34:35], v[34:35], s[16:17], -v[38:39]
	v_fma_f64 v[15:16], v[5:6], s[24:25], v[15:16]
	v_fma_f64 v[17:18], v[7:8], s[24:25], v[17:18]
	;; [unrolled: 1-line block ×6, first 2 shown]
	v_add_f64 v[11:12], v[11:12], v[28:29]
	v_add_f64 v[13:14], v[13:14], v[30:31]
	v_add_f64 v[40:41], v[40:41], v[28:29]
	v_add_f64 v[42:43], v[42:43], v[30:31]
	v_add_f64 v[32:33], v[32:33], v[28:29]
	v_add_f64 v[34:35], v[34:35], v[30:31]
	v_add_f64 v[5:6], v[17:18], v[11:12]
	v_add_f64 v[7:8], v[13:14], -v[15:16]
	v_add_f64 v[24:25], v[46:47], v[40:41]
	v_add_f64 v[26:27], v[42:43], -v[44:45]
	v_add_f64 v[28:29], v[32:33], -v[38:39]
	v_add_f64 v[30:31], v[36:37], v[34:35]
	v_add_f64 v[32:33], v[38:39], v[32:33]
	v_add_f64 v[34:35], v[34:35], -v[36:37]
	v_add_f64 v[36:37], v[40:41], -v[46:47]
	v_add_f64 v[38:39], v[44:45], v[42:43]
	v_add_f64 v[40:41], v[11:12], -v[17:18]
	v_add_f64 v[42:43], v[15:16], v[13:14]
	ds_write_b128 v0, v[1:4]
	ds_write_b128 v0, v[5:8] offset:416
	ds_write_b128 v0, v[24:27] offset:832
	;; [unrolled: 1-line block ×6, first 2 shown]
	s_waitcnt lgkmcnt(0)
	s_barrier
	buffer_gl0_inv
	ds_read_b128 v[0:3], v10 offset:2912
	ds_read_b128 v[4:7], v10 offset:5824
	;; [unrolled: 1-line block ×6, first 2 shown]
	s_waitcnt lgkmcnt(5)
	v_mul_f64 v[8:9], v[102:103], v[2:3]
	v_mul_f64 v[11:12], v[102:103], v[0:1]
	s_waitcnt lgkmcnt(4)
	v_mul_f64 v[13:14], v[98:99], v[6:7]
	v_mul_f64 v[15:16], v[98:99], v[4:5]
	;; [unrolled: 3-line block ×6, first 2 shown]
	v_fma_f64 v[0:1], v[100:101], v[0:1], v[8:9]
	v_fma_f64 v[2:3], v[100:101], v[2:3], -v[11:12]
	v_fma_f64 v[4:5], v[96:97], v[4:5], v[13:14]
	v_fma_f64 v[6:7], v[96:97], v[6:7], -v[15:16]
	;; [unrolled: 2-line block ×6, first 2 shown]
	v_add_f64 v[30:31], v[0:1], v[8:9]
	v_add_f64 v[32:33], v[2:3], v[11:12]
	;; [unrolled: 1-line block ×4, first 2 shown]
	v_add_f64 v[4:5], v[4:5], -v[13:14]
	v_add_f64 v[6:7], v[6:7], -v[15:16]
	v_add_f64 v[13:14], v[17:18], v[26:27]
	v_add_f64 v[15:16], v[24:25], v[28:29]
	v_add_f64 v[17:18], v[26:27], -v[17:18]
	v_add_f64 v[24:25], v[28:29], -v[24:25]
	;; [unrolled: 1-line block ×4, first 2 shown]
	v_add_f64 v[0:1], v[34:35], v[30:31]
	v_add_f64 v[2:3], v[36:37], v[32:33]
	v_add_f64 v[26:27], v[30:31], -v[13:14]
	v_add_f64 v[28:29], v[32:33], -v[15:16]
	;; [unrolled: 1-line block ×6, first 2 shown]
	v_add_f64 v[4:5], v[17:18], v[4:5]
	v_add_f64 v[6:7], v[24:25], v[6:7]
	v_add_f64 v[17:18], v[8:9], -v[17:18]
	v_add_f64 v[24:25], v[11:12], -v[24:25]
	;; [unrolled: 1-line block ×4, first 2 shown]
	v_add_f64 v[46:47], v[13:14], v[0:1]
	v_add_f64 v[48:49], v[15:16], v[2:3]
	ds_read_b128 v[0:3], v10
	v_add_f64 v[13:14], v[13:14], -v[34:35]
	v_add_f64 v[15:16], v[15:16], -v[36:37]
	v_mul_f64 v[26:27], v[26:27], s[2:3]
	v_mul_f64 v[28:29], v[28:29], s[2:3]
	;; [unrolled: 1-line block ×6, first 2 shown]
	v_add_f64 v[4:5], v[4:5], v[8:9]
	v_add_f64 v[6:7], v[6:7], v[11:12]
	s_mov_b32 s2, 0xf5262dd1
	s_mov_b32 s3, 0x3f49b876
	s_waitcnt lgkmcnt(0)
	v_add_f64 v[0:1], v[0:1], v[46:47]
	v_add_f64 v[2:3], v[2:3], v[48:49]
	v_mul_f64 v[34:35], v[13:14], s[0:1]
	v_mul_f64 v[36:37], v[15:16], s[0:1]
	v_fma_f64 v[8:9], v[13:14], s[0:1], v[26:27]
	v_fma_f64 v[11:12], v[15:16], s[0:1], v[28:29]
	;; [unrolled: 1-line block ×4, first 2 shown]
	v_fma_f64 v[38:39], v[42:43], s[4:5], -v[38:39]
	v_fma_f64 v[40:41], v[44:45], s[4:5], -v[40:41]
	;; [unrolled: 1-line block ×6, first 2 shown]
	s_mul_i32 s1, s9, 0x27d
	s_mul_hi_u32 s4, s8, 0x27d
	s_mul_i32 s0, s8, 0x27d
	s_mul_hi_u32 s5, s8, 0xfffffe39
	s_add_i32 s1, s4, s1
	v_fma_f64 v[42:43], v[46:47], s[12:13], v[0:1]
	v_fma_f64 v[44:45], v[48:49], s[12:13], v[2:3]
	v_fma_f64 v[30:31], v[30:31], s[16:17], -v[34:35]
	v_fma_f64 v[32:33], v[32:33], s[16:17], -v[36:37]
	v_fma_f64 v[13:14], v[4:5], s[24:25], v[13:14]
	v_fma_f64 v[15:16], v[6:7], s[24:25], v[15:16]
	;; [unrolled: 1-line block ×6, first 2 shown]
	v_add_f64 v[8:9], v[8:9], v[42:43]
	v_add_f64 v[11:12], v[11:12], v[44:45]
	v_add_f64 v[40:41], v[26:27], v[42:43]
	v_add_f64 v[46:47], v[28:29], v[44:45]
	v_add_f64 v[42:43], v[30:31], v[42:43]
	v_add_f64 v[44:45], v[32:33], v[44:45]
	v_add_f64 v[4:5], v[15:16], v[8:9]
	v_add_f64 v[6:7], v[11:12], -v[13:14]
	v_add_f64 v[24:25], v[38:39], v[40:41]
	v_add_f64 v[26:27], v[46:47], -v[17:18]
	v_add_f64 v[28:29], v[42:43], -v[36:37]
	v_add_f64 v[30:31], v[34:35], v[44:45]
	v_add_f64 v[32:33], v[36:37], v[42:43]
	v_add_f64 v[36:37], v[40:41], -v[38:39]
	v_add_f64 v[40:41], v[8:9], -v[15:16]
	s_clause 0x1
	buffer_load_dword v8, off, s[44:47], 0 offset:8
	buffer_load_dword v9, off, s[44:47], 0 offset:12
	v_add_f64 v[34:35], v[44:45], -v[34:35]
	v_add_f64 v[38:39], v[17:18], v[46:47]
	v_add_f64 v[42:43], v[13:14], v[11:12]
	ds_write_b128 v10, v[0:3]
	ds_write_b128 v10, v[4:7] offset:2912
	ds_write_b128 v10, v[24:27] offset:5824
	;; [unrolled: 1-line block ×6, first 2 shown]
	s_waitcnt vmcnt(0) lgkmcnt(0)
	s_barrier
	buffer_gl0_inv
	ds_read_b128 v[0:3], v10
	ds_read_b128 v[4:7], v10 offset:10192
	ds_read_b128 v[24:27], v10 offset:2912
	;; [unrolled: 1-line block ×5, first 2 shown]
	s_clause 0x3
	buffer_load_dword v59, off, s[44:47], 0 offset:20
	buffer_load_dword v60, off, s[44:47], 0 offset:24
	;; [unrolled: 1-line block ×4, first 2 shown]
	v_mad_u64_u32 v[11:12], null, s8, v233, 0
	s_waitcnt lgkmcnt(0)
	v_mul_f64 v[56:57], v[22:23], v[38:39]
	v_mul_f64 v[22:23], v[22:23], v[36:37]
	v_mov_b32_e32 v13, v8
	v_mad_u64_u32 v[8:9], null, s10, v13, 0
	s_mul_i32 s10, s8, 0xfffffe39
	s_sub_i32 s8, s5, s8
	s_lshl_b64 s[4:5], s[0:1], 4
	v_mad_u64_u32 v[13:14], null, s11, v13, v[9:10]
	v_mov_b32_e32 v9, v12
	s_mul_i32 s11, s9, 0xfffffe39
	s_add_i32 s11, s8, s11
	v_mad_u64_u32 v[14:15], null, s9, v233, v[9:10]
	v_mov_b32_e32 v9, v13
	s_waitcnt vmcnt(0)
	v_mul_f64 v[15:16], v[61:62], v[2:3]
	v_mul_f64 v[17:18], v[61:62], v[0:1]
	s_clause 0x3
	buffer_load_dword v61, off, s[44:47], 0 offset:36
	buffer_load_dword v62, off, s[44:47], 0 offset:40
	;; [unrolled: 1-line block ×4, first 2 shown]
	v_lshlrev_b64 v[8:9], 4, v[8:9]
	v_mov_b32_e32 v12, v14
	v_add_co_u32 v19, s0, s6, v8
	v_add_co_ci_u32_e64 v58, s0, s7, v9, s0
	v_lshlrev_b64 v[11:12], 4, v[11:12]
	s_lshl_b64 s[6:7], s[10:11], 4
	v_fma_f64 v[0:1], v[59:60], v[0:1], v[15:16]
	v_fma_f64 v[8:9], v[59:60], v[2:3], -v[17:18]
	v_mul_f64 v[2:3], v[0:1], s[2:3]
	s_waitcnt vmcnt(0)
	v_mul_f64 v[40:41], v[63:64], v[6:7]
	v_mul_f64 v[42:43], v[63:64], v[4:5]
	s_clause 0x3
	buffer_load_dword v63, off, s[44:47], 0 offset:52
	buffer_load_dword v64, off, s[44:47], 0 offset:56
	;; [unrolled: 1-line block ×4, first 2 shown]
	v_fma_f64 v[13:14], v[61:62], v[4:5], v[40:41]
	v_fma_f64 v[15:16], v[61:62], v[6:7], -v[42:43]
	v_mul_f64 v[4:5], v[8:9], s[2:3]
	v_mul_f64 v[6:7], v[13:14], s[2:3]
	;; [unrolled: 1-line block ×3, first 2 shown]
	s_waitcnt vmcnt(0)
	v_mul_f64 v[44:45], v[65:66], v[26:27]
	v_mul_f64 v[46:47], v[65:66], v[24:25]
	s_clause 0x3
	buffer_load_dword v65, off, s[44:47], 0 offset:68
	buffer_load_dword v66, off, s[44:47], 0 offset:72
	;; [unrolled: 1-line block ×4, first 2 shown]
	v_fma_f64 v[17:18], v[63:64], v[24:25], v[44:45]
	v_fma_f64 v[24:25], v[63:64], v[26:27], -v[46:47]
	v_mul_f64 v[13:14], v[24:25], s[2:3]
	s_waitcnt vmcnt(0)
	v_mul_f64 v[48:49], v[67:68], v[30:31]
	v_mul_f64 v[50:51], v[67:68], v[28:29]
	s_clause 0x3
	buffer_load_dword v67, off, s[44:47], 0 offset:84
	buffer_load_dword v68, off, s[44:47], 0 offset:88
	;; [unrolled: 1-line block ×4, first 2 shown]
	v_fma_f64 v[26:27], v[65:66], v[28:29], v[48:49]
	v_fma_f64 v[28:29], v[65:66], v[30:31], -v[50:51]
	v_mul_f64 v[15:16], v[26:27], s[2:3]
	s_waitcnt vmcnt(0)
	v_mul_f64 v[52:53], v[69:70], v[34:35]
	v_mul_f64 v[54:55], v[69:70], v[32:33]
	v_fma_f64 v[30:31], v[67:68], v[32:33], v[52:53]
	v_fma_f64 v[32:33], v[67:68], v[34:35], -v[54:55]
	v_fma_f64 v[34:35], v[20:21], v[36:37], v[56:57]
	v_fma_f64 v[36:37], v[20:21], v[38:39], -v[22:23]
	v_add_co_u32 v38, s0, v19, v11
	v_add_co_ci_u32_e64 v39, s0, v58, v12, s0
	v_mul_f64 v[11:12], v[17:18], s[2:3]
	v_add_co_u32 v40, s0, v38, s4
	v_add_co_ci_u32_e64 v41, s0, s5, v39, s0
	v_mul_f64 v[17:18], v[28:29], s[2:3]
	v_add_co_u32 v27, s0, v40, s6
	v_add_co_ci_u32_e64 v28, s0, s7, v41, s0
	v_add_co_u32 v29, s0, v27, s4
	v_mul_f64 v[19:20], v[30:31], s[2:3]
	v_mul_f64 v[21:22], v[32:33], s[2:3]
	;; [unrolled: 1-line block ×4, first 2 shown]
	v_add_co_ci_u32_e64 v30, s0, s5, v28, s0
	v_add_co_u32 v31, s0, v29, s6
	v_add_co_ci_u32_e64 v32, s0, s7, v30, s0
	v_add_co_u32 v0, s0, v31, s4
	v_add_co_ci_u32_e64 v1, s0, s5, v32, s0
	global_store_dwordx4 v[38:39], v[2:5], off
	global_store_dwordx4 v[40:41], v[6:9], off
	global_store_dwordx4 v[27:28], v[11:14], off
	global_store_dwordx4 v[29:30], v[15:18], off
	global_store_dwordx4 v[31:32], v[19:22], off
	global_store_dwordx4 v[0:1], v[23:26], off
	s_and_b32 exec_lo, exec_lo, vcc_lo
	s_cbranch_execz .LBB0_23
; %bb.22:
	s_clause 0x1
	buffer_load_dword v2, off, s[44:47], 0
	buffer_load_dword v3, off, s[44:47], 0 offset:4
	v_add_co_u32 v0, vcc_lo, v0, s6
	v_add_co_ci_u32_e32 v1, vcc_lo, s7, v1, vcc_lo
	s_waitcnt vmcnt(0)
	s_clause 0x1
	global_load_dwordx4 v[2:5], v[2:3], off offset:544
	global_load_dwordx4 v[6:9], v[179:180], off offset:496
	ds_read_b128 v[11:14], v10 offset:8736
	ds_read_b128 v[15:18], v10 offset:18928
	s_waitcnt vmcnt(1) lgkmcnt(1)
	v_mul_f64 v[19:20], v[13:14], v[4:5]
	v_mul_f64 v[4:5], v[11:12], v[4:5]
	s_waitcnt vmcnt(0) lgkmcnt(0)
	v_mul_f64 v[21:22], v[17:18], v[8:9]
	v_mul_f64 v[8:9], v[15:16], v[8:9]
	v_fma_f64 v[10:11], v[11:12], v[2:3], v[19:20]
	v_fma_f64 v[4:5], v[2:3], v[13:14], -v[4:5]
	v_fma_f64 v[12:13], v[15:16], v[6:7], v[21:22]
	v_fma_f64 v[8:9], v[6:7], v[17:18], -v[8:9]
	v_mul_f64 v[2:3], v[10:11], s[2:3]
	v_mul_f64 v[4:5], v[4:5], s[2:3]
	;; [unrolled: 1-line block ×4, first 2 shown]
	v_add_co_u32 v10, vcc_lo, v0, s4
	v_add_co_ci_u32_e32 v11, vcc_lo, s5, v1, vcc_lo
	global_store_dwordx4 v[0:1], v[2:5], off
	global_store_dwordx4 v[10:11], v[6:9], off
.LBB0_23:
	s_endpgm
	.section	.rodata,"a",@progbits
	.p2align	6, 0x0
	.amdhsa_kernel bluestein_single_back_len1274_dim1_dp_op_CI_CI
		.amdhsa_group_segment_fixed_size 20384
		.amdhsa_private_segment_fixed_size 332
		.amdhsa_kernarg_size 104
		.amdhsa_user_sgpr_count 6
		.amdhsa_user_sgpr_private_segment_buffer 1
		.amdhsa_user_sgpr_dispatch_ptr 0
		.amdhsa_user_sgpr_queue_ptr 0
		.amdhsa_user_sgpr_kernarg_segment_ptr 1
		.amdhsa_user_sgpr_dispatch_id 0
		.amdhsa_user_sgpr_flat_scratch_init 0
		.amdhsa_user_sgpr_private_segment_size 0
		.amdhsa_wavefront_size32 1
		.amdhsa_uses_dynamic_stack 0
		.amdhsa_system_sgpr_private_segment_wavefront_offset 1
		.amdhsa_system_sgpr_workgroup_id_x 1
		.amdhsa_system_sgpr_workgroup_id_y 0
		.amdhsa_system_sgpr_workgroup_id_z 0
		.amdhsa_system_sgpr_workgroup_info 0
		.amdhsa_system_vgpr_workitem_id 0
		.amdhsa_next_free_vgpr 256
		.amdhsa_next_free_sgpr 48
		.amdhsa_reserve_vcc 1
		.amdhsa_reserve_flat_scratch 0
		.amdhsa_float_round_mode_32 0
		.amdhsa_float_round_mode_16_64 0
		.amdhsa_float_denorm_mode_32 3
		.amdhsa_float_denorm_mode_16_64 3
		.amdhsa_dx10_clamp 1
		.amdhsa_ieee_mode 1
		.amdhsa_fp16_overflow 0
		.amdhsa_workgroup_processor_mode 1
		.amdhsa_memory_ordered 1
		.amdhsa_forward_progress 0
		.amdhsa_shared_vgpr_count 0
		.amdhsa_exception_fp_ieee_invalid_op 0
		.amdhsa_exception_fp_denorm_src 0
		.amdhsa_exception_fp_ieee_div_zero 0
		.amdhsa_exception_fp_ieee_overflow 0
		.amdhsa_exception_fp_ieee_underflow 0
		.amdhsa_exception_fp_ieee_inexact 0
		.amdhsa_exception_int_div_zero 0
	.end_amdhsa_kernel
	.text
.Lfunc_end0:
	.size	bluestein_single_back_len1274_dim1_dp_op_CI_CI, .Lfunc_end0-bluestein_single_back_len1274_dim1_dp_op_CI_CI
                                        ; -- End function
	.section	.AMDGPU.csdata,"",@progbits
; Kernel info:
; codeLenInByte = 18588
; NumSgprs: 50
; NumVgprs: 256
; ScratchSize: 332
; MemoryBound: 0
; FloatMode: 240
; IeeeMode: 1
; LDSByteSize: 20384 bytes/workgroup (compile time only)
; SGPRBlocks: 6
; VGPRBlocks: 31
; NumSGPRsForWavesPerEU: 50
; NumVGPRsForWavesPerEU: 256
; Occupancy: 4
; WaveLimiterHint : 1
; COMPUTE_PGM_RSRC2:SCRATCH_EN: 1
; COMPUTE_PGM_RSRC2:USER_SGPR: 6
; COMPUTE_PGM_RSRC2:TRAP_HANDLER: 0
; COMPUTE_PGM_RSRC2:TGID_X_EN: 1
; COMPUTE_PGM_RSRC2:TGID_Y_EN: 0
; COMPUTE_PGM_RSRC2:TGID_Z_EN: 0
; COMPUTE_PGM_RSRC2:TIDIG_COMP_CNT: 0
	.text
	.p2alignl 6, 3214868480
	.fill 48, 4, 3214868480
	.type	__hip_cuid_8ceb0d3e16a9f537,@object ; @__hip_cuid_8ceb0d3e16a9f537
	.section	.bss,"aw",@nobits
	.globl	__hip_cuid_8ceb0d3e16a9f537
__hip_cuid_8ceb0d3e16a9f537:
	.byte	0                               ; 0x0
	.size	__hip_cuid_8ceb0d3e16a9f537, 1

	.ident	"AMD clang version 19.0.0git (https://github.com/RadeonOpenCompute/llvm-project roc-6.4.0 25133 c7fe45cf4b819c5991fe208aaa96edf142730f1d)"
	.section	".note.GNU-stack","",@progbits
	.addrsig
	.addrsig_sym __hip_cuid_8ceb0d3e16a9f537
	.amdgpu_metadata
---
amdhsa.kernels:
  - .args:
      - .actual_access:  read_only
        .address_space:  global
        .offset:         0
        .size:           8
        .value_kind:     global_buffer
      - .actual_access:  read_only
        .address_space:  global
        .offset:         8
        .size:           8
        .value_kind:     global_buffer
      - .actual_access:  read_only
        .address_space:  global
        .offset:         16
        .size:           8
        .value_kind:     global_buffer
      - .actual_access:  read_only
        .address_space:  global
        .offset:         24
        .size:           8
        .value_kind:     global_buffer
      - .actual_access:  read_only
        .address_space:  global
        .offset:         32
        .size:           8
        .value_kind:     global_buffer
      - .offset:         40
        .size:           8
        .value_kind:     by_value
      - .address_space:  global
        .offset:         48
        .size:           8
        .value_kind:     global_buffer
      - .address_space:  global
        .offset:         56
        .size:           8
        .value_kind:     global_buffer
      - .address_space:  global
        .offset:         64
        .size:           8
        .value_kind:     global_buffer
      - .address_space:  global
        .offset:         72
        .size:           8
        .value_kind:     global_buffer
      - .offset:         80
        .size:           4
        .value_kind:     by_value
      - .address_space:  global
        .offset:         88
        .size:           8
        .value_kind:     global_buffer
      - .address_space:  global
        .offset:         96
        .size:           8
        .value_kind:     global_buffer
    .group_segment_fixed_size: 20384
    .kernarg_segment_align: 8
    .kernarg_segment_size: 104
    .language:       OpenCL C
    .language_version:
      - 2
      - 0
    .max_flat_workgroup_size: 182
    .name:           bluestein_single_back_len1274_dim1_dp_op_CI_CI
    .private_segment_fixed_size: 332
    .sgpr_count:     50
    .sgpr_spill_count: 0
    .symbol:         bluestein_single_back_len1274_dim1_dp_op_CI_CI.kd
    .uniform_work_group_size: 1
    .uses_dynamic_stack: false
    .vgpr_count:     256
    .vgpr_spill_count: 82
    .wavefront_size: 32
    .workgroup_processor_mode: 1
amdhsa.target:   amdgcn-amd-amdhsa--gfx1030
amdhsa.version:
  - 1
  - 2
...

	.end_amdgpu_metadata
